;; amdgpu-corpus repo=ROCm/rocFFT kind=compiled arch=gfx1100 opt=O3
	.text
	.amdgcn_target "amdgcn-amd-amdhsa--gfx1100"
	.amdhsa_code_object_version 6
	.protected	fft_rtc_fwd_len3000_factors_10_3_10_10_wgs_100_tpt_100_halfLds_dp_op_CI_CI_unitstride_sbrr_C2R_dirReg ; -- Begin function fft_rtc_fwd_len3000_factors_10_3_10_10_wgs_100_tpt_100_halfLds_dp_op_CI_CI_unitstride_sbrr_C2R_dirReg
	.globl	fft_rtc_fwd_len3000_factors_10_3_10_10_wgs_100_tpt_100_halfLds_dp_op_CI_CI_unitstride_sbrr_C2R_dirReg
	.p2align	8
	.type	fft_rtc_fwd_len3000_factors_10_3_10_10_wgs_100_tpt_100_halfLds_dp_op_CI_CI_unitstride_sbrr_C2R_dirReg,@function
fft_rtc_fwd_len3000_factors_10_3_10_10_wgs_100_tpt_100_halfLds_dp_op_CI_CI_unitstride_sbrr_C2R_dirReg: ; @fft_rtc_fwd_len3000_factors_10_3_10_10_wgs_100_tpt_100_halfLds_dp_op_CI_CI_unitstride_sbrr_C2R_dirReg
; %bb.0:
	s_clause 0x2
	s_load_b128 s[8:11], s[0:1], 0x0
	s_load_b128 s[4:7], s[0:1], 0x58
	;; [unrolled: 1-line block ×3, first 2 shown]
	v_mul_u32_u24_e32 v1, 0x290, v0
	v_mov_b32_e32 v3, 0
	s_delay_alu instid0(VALU_DEP_2) | instskip(NEXT) | instid1(VALU_DEP_1)
	v_lshrrev_b32_e32 v1, 16, v1
	v_add_nc_u32_e32 v5, s15, v1
	v_mov_b32_e32 v1, 0
	v_mov_b32_e32 v2, 0
	;; [unrolled: 1-line block ×3, first 2 shown]
	s_waitcnt lgkmcnt(0)
	v_cmp_lt_u64_e64 s2, s[10:11], 2
	s_delay_alu instid0(VALU_DEP_1)
	s_and_b32 vcc_lo, exec_lo, s2
	s_cbranch_vccnz .LBB0_8
; %bb.1:
	s_load_b64 s[2:3], s[0:1], 0x10
	v_mov_b32_e32 v1, 0
	v_mov_b32_e32 v2, 0
	s_add_u32 s12, s18, 8
	s_addc_u32 s13, s19, 0
	s_add_u32 s14, s16, 8
	s_addc_u32 s15, s17, 0
	v_dual_mov_b32 v115, v2 :: v_dual_mov_b32 v114, v1
	s_mov_b64 s[22:23], 1
	s_waitcnt lgkmcnt(0)
	s_add_u32 s20, s2, 8
	s_addc_u32 s21, s3, 0
.LBB0_2:                                ; =>This Inner Loop Header: Depth=1
	s_load_b64 s[24:25], s[20:21], 0x0
                                        ; implicit-def: $vgpr7_vgpr8
                                        ; kill: killed $vgpr7_vgpr8
	s_mov_b32 s2, exec_lo
	s_waitcnt lgkmcnt(0)
	v_or_b32_e32 v4, s25, v6
	s_delay_alu instid0(VALU_DEP_1)
	v_cmpx_ne_u64_e32 0, v[3:4]
	s_xor_b32 s3, exec_lo, s2
	s_cbranch_execz .LBB0_4
; %bb.3:                                ;   in Loop: Header=BB0_2 Depth=1
	v_cvt_f32_u32_e32 v4, s24
	v_cvt_f32_u32_e32 v7, s25
	s_sub_u32 s2, 0, s24
	s_subb_u32 s26, 0, s25
	s_delay_alu instid0(VALU_DEP_1) | instskip(NEXT) | instid1(VALU_DEP_1)
	v_fmac_f32_e32 v4, 0x4f800000, v7
	v_rcp_f32_e32 v4, v4
	s_waitcnt_depctr 0xfff
	v_mul_f32_e32 v4, 0x5f7ffffc, v4
	s_delay_alu instid0(VALU_DEP_1) | instskip(NEXT) | instid1(VALU_DEP_1)
	v_mul_f32_e32 v7, 0x2f800000, v4
	v_trunc_f32_e32 v7, v7
	s_delay_alu instid0(VALU_DEP_1) | instskip(SKIP_1) | instid1(VALU_DEP_2)
	v_fmac_f32_e32 v4, 0xcf800000, v7
	v_cvt_u32_f32_e32 v7, v7
	v_cvt_u32_f32_e32 v4, v4
	s_delay_alu instid0(VALU_DEP_2) | instskip(NEXT) | instid1(VALU_DEP_2)
	v_mul_lo_u32 v8, s2, v7
	v_mul_hi_u32 v9, s2, v4
	v_mul_lo_u32 v10, s26, v4
	s_delay_alu instid0(VALU_DEP_2) | instskip(SKIP_1) | instid1(VALU_DEP_2)
	v_add_nc_u32_e32 v8, v9, v8
	v_mul_lo_u32 v9, s2, v4
	v_add_nc_u32_e32 v8, v8, v10
	s_delay_alu instid0(VALU_DEP_2) | instskip(NEXT) | instid1(VALU_DEP_2)
	v_mul_hi_u32 v10, v4, v9
	v_mul_lo_u32 v11, v4, v8
	v_mul_hi_u32 v12, v4, v8
	v_mul_hi_u32 v13, v7, v9
	v_mul_lo_u32 v9, v7, v9
	v_mul_hi_u32 v14, v7, v8
	v_mul_lo_u32 v8, v7, v8
	v_add_co_u32 v10, vcc_lo, v10, v11
	v_add_co_ci_u32_e32 v11, vcc_lo, 0, v12, vcc_lo
	s_delay_alu instid0(VALU_DEP_2) | instskip(NEXT) | instid1(VALU_DEP_2)
	v_add_co_u32 v9, vcc_lo, v10, v9
	v_add_co_ci_u32_e32 v9, vcc_lo, v11, v13, vcc_lo
	v_add_co_ci_u32_e32 v10, vcc_lo, 0, v14, vcc_lo
	s_delay_alu instid0(VALU_DEP_2) | instskip(NEXT) | instid1(VALU_DEP_2)
	v_add_co_u32 v8, vcc_lo, v9, v8
	v_add_co_ci_u32_e32 v9, vcc_lo, 0, v10, vcc_lo
	s_delay_alu instid0(VALU_DEP_2) | instskip(NEXT) | instid1(VALU_DEP_2)
	v_add_co_u32 v4, vcc_lo, v4, v8
	v_add_co_ci_u32_e32 v7, vcc_lo, v7, v9, vcc_lo
	s_delay_alu instid0(VALU_DEP_2) | instskip(SKIP_1) | instid1(VALU_DEP_3)
	v_mul_hi_u32 v8, s2, v4
	v_mul_lo_u32 v10, s26, v4
	v_mul_lo_u32 v9, s2, v7
	s_delay_alu instid0(VALU_DEP_1) | instskip(SKIP_1) | instid1(VALU_DEP_2)
	v_add_nc_u32_e32 v8, v8, v9
	v_mul_lo_u32 v9, s2, v4
	v_add_nc_u32_e32 v8, v8, v10
	s_delay_alu instid0(VALU_DEP_2) | instskip(NEXT) | instid1(VALU_DEP_2)
	v_mul_hi_u32 v10, v4, v9
	v_mul_lo_u32 v11, v4, v8
	v_mul_hi_u32 v12, v4, v8
	v_mul_hi_u32 v13, v7, v9
	v_mul_lo_u32 v9, v7, v9
	v_mul_hi_u32 v14, v7, v8
	v_mul_lo_u32 v8, v7, v8
	v_add_co_u32 v10, vcc_lo, v10, v11
	v_add_co_ci_u32_e32 v11, vcc_lo, 0, v12, vcc_lo
	s_delay_alu instid0(VALU_DEP_2) | instskip(NEXT) | instid1(VALU_DEP_2)
	v_add_co_u32 v9, vcc_lo, v10, v9
	v_add_co_ci_u32_e32 v9, vcc_lo, v11, v13, vcc_lo
	v_add_co_ci_u32_e32 v10, vcc_lo, 0, v14, vcc_lo
	s_delay_alu instid0(VALU_DEP_2) | instskip(NEXT) | instid1(VALU_DEP_2)
	v_add_co_u32 v8, vcc_lo, v9, v8
	v_add_co_ci_u32_e32 v9, vcc_lo, 0, v10, vcc_lo
	s_delay_alu instid0(VALU_DEP_2) | instskip(NEXT) | instid1(VALU_DEP_2)
	v_add_co_u32 v4, vcc_lo, v4, v8
	v_add_co_ci_u32_e32 v13, vcc_lo, v7, v9, vcc_lo
	s_delay_alu instid0(VALU_DEP_2) | instskip(SKIP_1) | instid1(VALU_DEP_3)
	v_mul_hi_u32 v14, v5, v4
	v_mad_u64_u32 v[9:10], null, v6, v4, 0
	v_mad_u64_u32 v[7:8], null, v5, v13, 0
	;; [unrolled: 1-line block ×3, first 2 shown]
	s_delay_alu instid0(VALU_DEP_2) | instskip(NEXT) | instid1(VALU_DEP_3)
	v_add_co_u32 v4, vcc_lo, v14, v7
	v_add_co_ci_u32_e32 v7, vcc_lo, 0, v8, vcc_lo
	s_delay_alu instid0(VALU_DEP_2) | instskip(NEXT) | instid1(VALU_DEP_2)
	v_add_co_u32 v4, vcc_lo, v4, v9
	v_add_co_ci_u32_e32 v4, vcc_lo, v7, v10, vcc_lo
	v_add_co_ci_u32_e32 v7, vcc_lo, 0, v12, vcc_lo
	s_delay_alu instid0(VALU_DEP_2) | instskip(NEXT) | instid1(VALU_DEP_2)
	v_add_co_u32 v4, vcc_lo, v4, v11
	v_add_co_ci_u32_e32 v9, vcc_lo, 0, v7, vcc_lo
	s_delay_alu instid0(VALU_DEP_2) | instskip(SKIP_1) | instid1(VALU_DEP_3)
	v_mul_lo_u32 v10, s25, v4
	v_mad_u64_u32 v[7:8], null, s24, v4, 0
	v_mul_lo_u32 v11, s24, v9
	s_delay_alu instid0(VALU_DEP_2) | instskip(NEXT) | instid1(VALU_DEP_2)
	v_sub_co_u32 v7, vcc_lo, v5, v7
	v_add3_u32 v8, v8, v11, v10
	s_delay_alu instid0(VALU_DEP_1) | instskip(NEXT) | instid1(VALU_DEP_1)
	v_sub_nc_u32_e32 v10, v6, v8
	v_subrev_co_ci_u32_e64 v10, s2, s25, v10, vcc_lo
	v_add_co_u32 v11, s2, v4, 2
	s_delay_alu instid0(VALU_DEP_1) | instskip(SKIP_3) | instid1(VALU_DEP_3)
	v_add_co_ci_u32_e64 v12, s2, 0, v9, s2
	v_sub_co_u32 v13, s2, v7, s24
	v_sub_co_ci_u32_e32 v8, vcc_lo, v6, v8, vcc_lo
	v_subrev_co_ci_u32_e64 v10, s2, 0, v10, s2
	v_cmp_le_u32_e32 vcc_lo, s24, v13
	s_delay_alu instid0(VALU_DEP_3) | instskip(SKIP_1) | instid1(VALU_DEP_4)
	v_cmp_eq_u32_e64 s2, s25, v8
	v_cndmask_b32_e64 v13, 0, -1, vcc_lo
	v_cmp_le_u32_e32 vcc_lo, s25, v10
	v_cndmask_b32_e64 v14, 0, -1, vcc_lo
	v_cmp_le_u32_e32 vcc_lo, s24, v7
	;; [unrolled: 2-line block ×3, first 2 shown]
	v_cndmask_b32_e64 v15, 0, -1, vcc_lo
	v_cmp_eq_u32_e32 vcc_lo, s25, v10
	s_delay_alu instid0(VALU_DEP_2) | instskip(SKIP_3) | instid1(VALU_DEP_3)
	v_cndmask_b32_e64 v7, v15, v7, s2
	v_cndmask_b32_e32 v10, v14, v13, vcc_lo
	v_add_co_u32 v13, vcc_lo, v4, 1
	v_add_co_ci_u32_e32 v14, vcc_lo, 0, v9, vcc_lo
	v_cmp_ne_u32_e32 vcc_lo, 0, v10
	s_delay_alu instid0(VALU_DEP_2) | instskip(NEXT) | instid1(VALU_DEP_4)
	v_cndmask_b32_e32 v8, v14, v12, vcc_lo
	v_cndmask_b32_e32 v10, v13, v11, vcc_lo
	v_cmp_ne_u32_e32 vcc_lo, 0, v7
	s_delay_alu instid0(VALU_DEP_2)
	v_dual_cndmask_b32 v7, v4, v10 :: v_dual_cndmask_b32 v8, v9, v8
	scratch_store_b64 off, v[7:8], off      ; 8-byte Folded Spill
.LBB0_4:                                ;   in Loop: Header=BB0_2 Depth=1
	s_and_not1_saveexec_b32 s2, s3
	s_cbranch_execz .LBB0_6
; %bb.5:                                ;   in Loop: Header=BB0_2 Depth=1
	v_cvt_f32_u32_e32 v4, s24
	s_sub_i32 s3, 0, s24
	s_delay_alu instid0(VALU_DEP_1) | instskip(SKIP_2) | instid1(VALU_DEP_1)
	v_rcp_iflag_f32_e32 v4, v4
	s_waitcnt_depctr 0xfff
	v_mul_f32_e32 v4, 0x4f7ffffe, v4
	v_cvt_u32_f32_e32 v4, v4
	s_delay_alu instid0(VALU_DEP_1) | instskip(NEXT) | instid1(VALU_DEP_1)
	v_mul_lo_u32 v7, s3, v4
	v_mul_hi_u32 v7, v4, v7
	s_delay_alu instid0(VALU_DEP_1) | instskip(NEXT) | instid1(VALU_DEP_1)
	v_add_nc_u32_e32 v4, v4, v7
	v_mul_hi_u32 v4, v5, v4
	s_delay_alu instid0(VALU_DEP_1) | instskip(SKIP_1) | instid1(VALU_DEP_2)
	v_mul_lo_u32 v7, v4, s24
	v_add_nc_u32_e32 v8, 1, v4
	v_sub_nc_u32_e32 v7, v5, v7
	s_delay_alu instid0(VALU_DEP_1) | instskip(SKIP_1) | instid1(VALU_DEP_2)
	v_subrev_nc_u32_e32 v9, s24, v7
	v_cmp_le_u32_e32 vcc_lo, s24, v7
	v_dual_cndmask_b32 v7, v7, v9 :: v_dual_cndmask_b32 v4, v4, v8
	s_delay_alu instid0(VALU_DEP_1) | instskip(NEXT) | instid1(VALU_DEP_2)
	v_cmp_le_u32_e32 vcc_lo, s24, v7
	v_add_nc_u32_e32 v8, 1, v4
	s_delay_alu instid0(VALU_DEP_1)
	v_dual_cndmask_b32 v7, v4, v8 :: v_dual_mov_b32 v8, v3
	scratch_store_b64 off, v[7:8], off      ; 8-byte Folded Spill
.LBB0_6:                                ;   in Loop: Header=BB0_2 Depth=1
	s_or_b32 exec_lo, exec_lo, s2
	scratch_load_b64 v[13:14], off, off     ; 8-byte Folded Reload
	s_load_b64 s[2:3], s[14:15], 0x0
	s_add_u32 s22, s22, 1
	s_addc_u32 s23, s23, 0
	s_waitcnt vmcnt(0)
	v_mul_lo_u32 v4, v14, s24
	v_mul_lo_u32 v9, v13, s25
	v_mad_u64_u32 v[7:8], null, v13, s24, 0
	s_load_b64 s[24:25], s[12:13], 0x0
	s_add_u32 s12, s12, 8
	s_addc_u32 s13, s13, 0
	s_add_u32 s14, s14, 8
	s_addc_u32 s15, s15, 0
	s_add_u32 s20, s20, 8
	s_delay_alu instid0(VALU_DEP_1) | instskip(SKIP_2) | instid1(VALU_DEP_2)
	v_add3_u32 v4, v8, v9, v4
	v_sub_co_u32 v8, vcc_lo, v5, v7
	s_addc_u32 s21, s21, 0
	v_sub_co_ci_u32_e32 v6, vcc_lo, v6, v4, vcc_lo
	s_waitcnt lgkmcnt(0)
	s_delay_alu instid0(VALU_DEP_2) | instskip(SKIP_1) | instid1(VALU_DEP_3)
	v_mul_lo_u32 v10, s3, v8
	v_mad_u64_u32 v[4:5], null, s2, v8, v[1:2]
	v_mul_lo_u32 v9, s2, v6
	v_cmp_ge_u64_e64 s2, s[22:23], s[10:11]
	v_mul_lo_u32 v11, s24, v6
	v_mul_lo_u32 v12, s25, v8
	v_mad_u64_u32 v[6:7], null, s24, v8, v[114:115]
	v_add3_u32 v2, v10, v5, v9
	v_mov_b32_e32 v1, v4
	s_and_b32 vcc_lo, exec_lo, s2
	s_delay_alu instid0(VALU_DEP_3) | instskip(NEXT) | instid1(VALU_DEP_4)
	v_mov_b32_e32 v114, v6
	v_add3_u32 v115, v12, v7, v11
	s_cbranch_vccnz .LBB0_9
; %bb.7:                                ;   in Loop: Header=BB0_2 Depth=1
	v_dual_mov_b32 v5, v13 :: v_dual_mov_b32 v6, v14
	s_branch .LBB0_2
.LBB0_8:
	v_dual_mov_b32 v115, v2 :: v_dual_mov_b32 v114, v1
	scratch_store_b64 off, v[5:6], off      ; 8-byte Folded Spill
.LBB0_9:
	scratch_load_b64 v[4:5], off, off       ; 8-byte Folded Reload
	s_load_b64 s[0:1], s[0:1], 0x28
	v_mul_hi_u32 v3, 0x28f5c29, v0
	s_lshl_b64 s[10:11], s[10:11], 3
                                        ; implicit-def: $vgpr116
	s_delay_alu instid0(SALU_CYCLE_1) | instskip(SKIP_4) | instid1(VALU_DEP_1)
	s_add_u32 s2, s18, s10
	s_addc_u32 s3, s19, s11
	s_waitcnt vmcnt(0) lgkmcnt(0)
	v_cmp_gt_u64_e32 vcc_lo, s[0:1], v[4:5]
	v_cmp_le_u64_e64 s0, s[0:1], v[4:5]
	s_and_saveexec_b32 s1, s0
	s_delay_alu instid0(SALU_CYCLE_1)
	s_xor_b32 s0, exec_lo, s1
; %bb.10:
	v_mul_u32_u24_e32 v1, 0x64, v3
                                        ; implicit-def: $vgpr3
	s_delay_alu instid0(VALU_DEP_1)
	v_sub_nc_u32_e32 v116, v0, v1
                                        ; implicit-def: $vgpr0
                                        ; implicit-def: $vgpr1_vgpr2
; %bb.11:
	s_or_saveexec_b32 s1, s0
	s_load_b64 s[2:3], s[2:3], 0x0
	s_xor_b32 exec_lo, exec_lo, s1
	s_cbranch_execz .LBB0_15
; %bb.12:
	scratch_load_b64 v[8:9], off, off       ; 8-byte Folded Reload
	s_add_u32 s10, s16, s10
	s_addc_u32 s11, s17, s11
	v_lshlrev_b64 v[1:2], 4, v[1:2]
	s_load_b64 s[10:11], s[10:11], 0x0
	s_waitcnt vmcnt(0) lgkmcnt(0)
	v_mul_lo_u32 v6, s11, v8
	v_mul_lo_u32 v7, s10, v9
	v_mad_u64_u32 v[4:5], null, s10, v8, 0
	s_delay_alu instid0(VALU_DEP_1) | instskip(SKIP_1) | instid1(VALU_DEP_2)
	v_add3_u32 v5, v5, v7, v6
	v_mul_u32_u24_e32 v6, 0x64, v3
	v_lshlrev_b64 v[3:4], 4, v[4:5]
	s_delay_alu instid0(VALU_DEP_2) | instskip(NEXT) | instid1(VALU_DEP_1)
	v_sub_nc_u32_e32 v116, v0, v6
	v_lshlrev_b32_e32 v112, 4, v116
	s_delay_alu instid0(VALU_DEP_3) | instskip(NEXT) | instid1(VALU_DEP_1)
	v_add_co_u32 v0, s0, s4, v3
	v_add_co_ci_u32_e64 v3, s0, s5, v4, s0
	s_delay_alu instid0(VALU_DEP_2) | instskip(NEXT) | instid1(VALU_DEP_1)
	v_add_co_u32 v0, s0, v0, v1
	v_add_co_ci_u32_e64 v1, s0, v3, v2, s0
	s_delay_alu instid0(VALU_DEP_2) | instskip(NEXT) | instid1(VALU_DEP_1)
	;; [unrolled: 3-line block ×3, first 2 shown]
	v_add_co_u32 v18, s0, 0x1000, v110
	v_add_co_ci_u32_e64 v19, s0, 0, v111, s0
	v_add_co_u32 v26, s0, 0x2000, v110
	s_delay_alu instid0(VALU_DEP_1) | instskip(SKIP_1) | instid1(VALU_DEP_1)
	v_add_co_ci_u32_e64 v27, s0, 0, v111, s0
	v_add_co_u32 v38, s0, 0x3000, v110
	v_add_co_ci_u32_e64 v39, s0, 0, v111, s0
	v_add_co_u32 v46, s0, 0x4000, v110
	s_delay_alu instid0(VALU_DEP_1) | instskip(SKIP_1) | instid1(VALU_DEP_1)
	v_add_co_ci_u32_e64 v47, s0, 0, v111, s0
	;; [unrolled: 5-line block ×5, first 2 shown]
	v_add_co_u32 v126, s0, 0xb000, v110
	v_add_co_ci_u32_e64 v127, s0, 0, v111, s0
	s_clause 0x1d
	global_load_b128 v[2:5], v[110:111], off offset:1600
	global_load_b128 v[6:9], v[110:111], off offset:3200
	;; [unrolled: 1-line block ×28, first 2 shown]
	global_load_b128 v[122:125], v[110:111], off
	global_load_b128 v[126:129], v[126:127], off offset:1344
	v_add_nc_u32_e32 v110, 0, v112
	v_cmp_eq_u32_e64 s0, 0x63, v116
	s_waitcnt vmcnt(29)
	ds_store_b128 v110, v[2:5] offset:1600
	s_waitcnt vmcnt(28)
	ds_store_b128 v110, v[6:9] offset:3200
	;; [unrolled: 2-line block ×28, first 2 shown]
	s_waitcnt vmcnt(1)
	ds_store_b128 v110, v[122:125]
	s_waitcnt vmcnt(0)
	ds_store_b128 v110, v[126:129] offset:46400
	s_and_saveexec_b32 s4, s0
	s_cbranch_execz .LBB0_14
; %bb.13:
	v_add_co_u32 v0, s0, 0xb000, v0
	s_delay_alu instid0(VALU_DEP_1)
	v_add_co_ci_u32_e64 v1, s0, 0, v1, s0
	v_mov_b32_e32 v4, 0
	v_mov_b32_e32 v116, 0x63
	global_load_b128 v[0:3], v[0:1], off offset:2944
	s_waitcnt vmcnt(0)
	ds_store_b128 v4, v[0:3] offset:48000
.LBB0_14:
	s_or_b32 exec_lo, exec_lo, s4
.LBB0_15:
	s_delay_alu instid0(SALU_CYCLE_1)
	s_or_b32 exec_lo, exec_lo, s1
	v_lshlrev_b32_e32 v0, 4, v116
	s_waitcnt lgkmcnt(0)
	s_waitcnt_vscnt null, 0x0
	s_barrier
	buffer_gl0_inv
	s_add_u32 s1, s8, 0xbae0
	v_add_nc_u32_e32 v255, 0, v0
	v_sub_nc_u32_e32 v10, 0, v0
	s_addc_u32 s4, s9, 0
	s_mov_b32 s5, exec_lo
                                        ; implicit-def: $vgpr4_vgpr5
	ds_load_b64 v[6:7], v255
	ds_load_b64 v[8:9], v10 offset:48000
	s_waitcnt lgkmcnt(0)
	v_add_f64 v[0:1], v[6:7], v[8:9]
	v_add_f64 v[2:3], v[6:7], -v[8:9]
	v_cmpx_ne_u32_e32 0, v116
	s_xor_b32 s5, exec_lo, s5
	s_cbranch_execz .LBB0_17
; %bb.16:
	v_mov_b32_e32 v117, 0
	v_add_f64 v[13:14], v[6:7], v[8:9]
	v_add_f64 v[15:16], v[6:7], -v[8:9]
	s_delay_alu instid0(VALU_DEP_3) | instskip(NEXT) | instid1(VALU_DEP_1)
	v_lshlrev_b64 v[0:1], 4, v[116:117]
	v_add_co_u32 v0, s0, s1, v0
	s_delay_alu instid0(VALU_DEP_1)
	v_add_co_ci_u32_e64 v1, s0, s4, v1, s0
	global_load_b128 v[2:5], v[0:1], off
	ds_load_b64 v[0:1], v10 offset:48008
	ds_load_b64 v[11:12], v255 offset:8
	s_waitcnt lgkmcnt(0)
	v_add_f64 v[6:7], v[0:1], v[11:12]
	v_add_f64 v[0:1], v[11:12], -v[0:1]
	s_waitcnt vmcnt(0)
	v_fma_f64 v[8:9], v[15:16], v[4:5], v[13:14]
	v_fma_f64 v[11:12], -v[15:16], v[4:5], v[13:14]
	s_delay_alu instid0(VALU_DEP_3) | instskip(SKIP_1) | instid1(VALU_DEP_4)
	v_fma_f64 v[13:14], v[6:7], v[4:5], -v[0:1]
	v_fma_f64 v[4:5], v[6:7], v[4:5], v[0:1]
	v_fma_f64 v[0:1], -v[6:7], v[2:3], v[8:9]
	s_delay_alu instid0(VALU_DEP_4) | instskip(NEXT) | instid1(VALU_DEP_4)
	v_fma_f64 v[6:7], v[6:7], v[2:3], v[11:12]
	v_fma_f64 v[8:9], v[15:16], v[2:3], v[13:14]
	s_delay_alu instid0(VALU_DEP_4)
	v_fma_f64 v[2:3], v[15:16], v[2:3], v[4:5]
	v_dual_mov_b32 v4, v116 :: v_dual_mov_b32 v5, v117
	ds_store_b128 v10, v[6:9] offset:48000
.LBB0_17:
	s_and_not1_saveexec_b32 s0, s5
	s_cbranch_execz .LBB0_19
; %bb.18:
	v_mov_b32_e32 v8, 0
	ds_load_b128 v[4:7], v8 offset:24000
	s_waitcnt lgkmcnt(0)
	v_add_f64 v[11:12], v[4:5], v[4:5]
	v_mul_f64 v[13:14], v[6:7], -2.0
	v_mov_b32_e32 v4, 0
	v_mov_b32_e32 v5, 0
	ds_store_b128 v8, v[11:14] offset:24000
.LBB0_19:
	s_or_b32 exec_lo, exec_lo, s0
	v_lshlrev_b64 v[4:5], 4, v[4:5]
	v_add_nc_u16 v117, v116, 0x64
	v_mul_u32_u24_e32 v200, 10, v116
	v_add_nc_u32_e32 v230, 0x1f4, v116
	s_mov_b32 s10, 0x134454ff
	s_mov_b32 s11, 0x3fee6f0e
	v_add_co_u32 v4, s0, s1, v4
	s_delay_alu instid0(VALU_DEP_1) | instskip(SKIP_1) | instid1(VALU_DEP_2)
	v_add_co_ci_u32_e64 v5, s0, s4, v5, s0
	s_mov_b32 s15, 0xbfee6f0e
	v_add_co_u32 v23, s0, 0x1000, v4
	s_clause 0x1
	global_load_b128 v[6:9], v[4:5], off offset:1600
	global_load_b128 v[11:14], v[4:5], off offset:3200
	ds_store_b128 v255, v[0:3]
	ds_load_b128 v[0:3], v255 offset:1600
	ds_load_b128 v[15:18], v10 offset:46400
	v_add_co_ci_u32_e64 v24, s0, 0, v5, s0
	s_mov_b32 s14, s10
	s_mov_b32 s4, 0x4755a5e
	;; [unrolled: 1-line block ×3, first 2 shown]
	global_load_b128 v[19:22], v[23:24], off offset:704
	s_mov_b32 s13, 0xbfe2cf23
	s_mov_b32 s12, s4
	;; [unrolled: 1-line block ×7, first 2 shown]
	s_waitcnt lgkmcnt(0)
	v_add_f64 v[25:26], v[0:1], v[15:16]
	v_add_f64 v[27:28], v[17:18], v[2:3]
	v_add_f64 v[29:30], v[0:1], -v[15:16]
	v_add_f64 v[0:1], v[2:3], -v[17:18]
	s_waitcnt vmcnt(2)
	s_delay_alu instid0(VALU_DEP_2) | instskip(NEXT) | instid1(VALU_DEP_2)
	v_fma_f64 v[2:3], v[29:30], v[8:9], v[25:26]
	v_fma_f64 v[15:16], v[27:28], v[8:9], v[0:1]
	v_fma_f64 v[17:18], -v[29:30], v[8:9], v[25:26]
	v_fma_f64 v[8:9], v[27:28], v[8:9], -v[0:1]
	s_delay_alu instid0(VALU_DEP_4) | instskip(NEXT) | instid1(VALU_DEP_4)
	v_fma_f64 v[0:1], -v[27:28], v[6:7], v[2:3]
	v_fma_f64 v[2:3], v[29:30], v[6:7], v[15:16]
	s_delay_alu instid0(VALU_DEP_4) | instskip(NEXT) | instid1(VALU_DEP_4)
	v_fma_f64 v[15:16], v[27:28], v[6:7], v[17:18]
	v_fma_f64 v[17:18], v[29:30], v[6:7], v[8:9]
	ds_store_b128 v255, v[0:3] offset:1600
	ds_store_b128 v10, v[15:18] offset:46400
	ds_load_b128 v[0:3], v255 offset:3200
	ds_load_b128 v[6:9], v10 offset:44800
	global_load_b128 v[15:18], v[23:24], off offset:2304
	s_waitcnt lgkmcnt(0)
	v_add_f64 v[25:26], v[0:1], v[6:7]
	v_add_f64 v[27:28], v[8:9], v[2:3]
	v_add_f64 v[29:30], v[0:1], -v[6:7]
	v_add_f64 v[0:1], v[2:3], -v[8:9]
	s_waitcnt vmcnt(2)
	s_delay_alu instid0(VALU_DEP_2) | instskip(NEXT) | instid1(VALU_DEP_2)
	v_fma_f64 v[2:3], v[29:30], v[13:14], v[25:26]
	v_fma_f64 v[6:7], v[27:28], v[13:14], v[0:1]
	v_fma_f64 v[8:9], -v[29:30], v[13:14], v[25:26]
	v_fma_f64 v[13:14], v[27:28], v[13:14], -v[0:1]
	s_delay_alu instid0(VALU_DEP_4) | instskip(NEXT) | instid1(VALU_DEP_4)
	v_fma_f64 v[0:1], -v[27:28], v[11:12], v[2:3]
	v_fma_f64 v[2:3], v[29:30], v[11:12], v[6:7]
	s_delay_alu instid0(VALU_DEP_4) | instskip(NEXT) | instid1(VALU_DEP_4)
	v_fma_f64 v[6:7], v[27:28], v[11:12], v[8:9]
	v_fma_f64 v[8:9], v[29:30], v[11:12], v[13:14]
	ds_store_b128 v255, v[0:3] offset:3200
	ds_store_b128 v10, v[6:9] offset:44800
	ds_load_b128 v[0:3], v255 offset:4800
	ds_load_b128 v[6:9], v10 offset:43200
	global_load_b128 v[11:14], v[23:24], off offset:3904
	s_waitcnt lgkmcnt(0)
	v_add_f64 v[23:24], v[0:1], v[6:7]
	v_add_f64 v[25:26], v[8:9], v[2:3]
	v_add_f64 v[27:28], v[0:1], -v[6:7]
	v_add_f64 v[0:1], v[2:3], -v[8:9]
	s_waitcnt vmcnt(2)
	s_delay_alu instid0(VALU_DEP_2) | instskip(NEXT) | instid1(VALU_DEP_2)
	v_fma_f64 v[2:3], v[27:28], v[21:22], v[23:24]
	v_fma_f64 v[6:7], v[25:26], v[21:22], v[0:1]
	v_fma_f64 v[8:9], -v[27:28], v[21:22], v[23:24]
	v_fma_f64 v[21:22], v[25:26], v[21:22], -v[0:1]
	v_add_co_u32 v23, s0, 0x2000, v4
	s_delay_alu instid0(VALU_DEP_1)
	v_add_co_ci_u32_e64 v24, s0, 0, v5, s0
	v_fma_f64 v[0:1], -v[25:26], v[19:20], v[2:3]
	v_fma_f64 v[2:3], v[27:28], v[19:20], v[6:7]
	v_fma_f64 v[6:7], v[25:26], v[19:20], v[8:9]
	;; [unrolled: 1-line block ×3, first 2 shown]
	ds_store_b128 v255, v[0:3] offset:4800
	ds_store_b128 v10, v[6:9] offset:43200
	ds_load_b128 v[0:3], v255 offset:6400
	ds_load_b128 v[6:9], v10 offset:41600
	global_load_b128 v[19:22], v[23:24], off offset:1408
	s_waitcnt lgkmcnt(0)
	v_add_f64 v[25:26], v[0:1], v[6:7]
	v_add_f64 v[27:28], v[8:9], v[2:3]
	v_add_f64 v[29:30], v[0:1], -v[6:7]
	v_add_f64 v[0:1], v[2:3], -v[8:9]
	s_waitcnt vmcnt(2)
	s_delay_alu instid0(VALU_DEP_2) | instskip(NEXT) | instid1(VALU_DEP_2)
	v_fma_f64 v[2:3], v[29:30], v[17:18], v[25:26]
	v_fma_f64 v[6:7], v[27:28], v[17:18], v[0:1]
	v_fma_f64 v[8:9], -v[29:30], v[17:18], v[25:26]
	v_fma_f64 v[17:18], v[27:28], v[17:18], -v[0:1]
	s_delay_alu instid0(VALU_DEP_4) | instskip(NEXT) | instid1(VALU_DEP_4)
	v_fma_f64 v[0:1], -v[27:28], v[15:16], v[2:3]
	v_fma_f64 v[2:3], v[29:30], v[15:16], v[6:7]
	s_delay_alu instid0(VALU_DEP_4) | instskip(NEXT) | instid1(VALU_DEP_4)
	v_fma_f64 v[6:7], v[27:28], v[15:16], v[8:9]
	v_fma_f64 v[8:9], v[29:30], v[15:16], v[17:18]
	ds_store_b128 v255, v[0:3] offset:6400
	ds_store_b128 v10, v[6:9] offset:41600
	ds_load_b128 v[0:3], v255 offset:8000
	ds_load_b128 v[6:9], v10 offset:40000
	global_load_b128 v[15:18], v[23:24], off offset:3008
	s_waitcnt lgkmcnt(0)
	v_add_f64 v[23:24], v[0:1], v[6:7]
	v_add_f64 v[25:26], v[8:9], v[2:3]
	v_add_f64 v[27:28], v[0:1], -v[6:7]
	v_add_f64 v[0:1], v[2:3], -v[8:9]
	s_waitcnt vmcnt(2)
	s_delay_alu instid0(VALU_DEP_2) | instskip(NEXT) | instid1(VALU_DEP_2)
	v_fma_f64 v[2:3], v[27:28], v[13:14], v[23:24]
	v_fma_f64 v[6:7], v[25:26], v[13:14], v[0:1]
	v_fma_f64 v[8:9], -v[27:28], v[13:14], v[23:24]
	v_fma_f64 v[13:14], v[25:26], v[13:14], -v[0:1]
	v_add_co_u32 v23, s0, 0x3000, v4
	s_delay_alu instid0(VALU_DEP_1)
	v_add_co_ci_u32_e64 v24, s0, 0, v5, s0
	v_fma_f64 v[0:1], -v[25:26], v[11:12], v[2:3]
	v_fma_f64 v[2:3], v[27:28], v[11:12], v[6:7]
	v_fma_f64 v[6:7], v[25:26], v[11:12], v[8:9]
	;; [unrolled: 1-line block ×3, first 2 shown]
	ds_store_b128 v255, v[0:3] offset:8000
	ds_store_b128 v10, v[6:9] offset:40000
	ds_load_b128 v[0:3], v255 offset:9600
	ds_load_b128 v[6:9], v10 offset:38400
	global_load_b128 v[11:14], v[23:24], off offset:512
	s_waitcnt lgkmcnt(0)
	v_add_f64 v[25:26], v[0:1], v[6:7]
	v_add_f64 v[27:28], v[8:9], v[2:3]
	v_add_f64 v[29:30], v[0:1], -v[6:7]
	v_add_f64 v[0:1], v[2:3], -v[8:9]
	s_waitcnt vmcnt(2)
	s_delay_alu instid0(VALU_DEP_2) | instskip(NEXT) | instid1(VALU_DEP_2)
	v_fma_f64 v[2:3], v[29:30], v[21:22], v[25:26]
	v_fma_f64 v[6:7], v[27:28], v[21:22], v[0:1]
	v_fma_f64 v[8:9], -v[29:30], v[21:22], v[25:26]
	v_fma_f64 v[21:22], v[27:28], v[21:22], -v[0:1]
	s_delay_alu instid0(VALU_DEP_4) | instskip(NEXT) | instid1(VALU_DEP_4)
	v_fma_f64 v[0:1], -v[27:28], v[19:20], v[2:3]
	v_fma_f64 v[2:3], v[29:30], v[19:20], v[6:7]
	s_delay_alu instid0(VALU_DEP_4) | instskip(NEXT) | instid1(VALU_DEP_4)
	v_fma_f64 v[6:7], v[27:28], v[19:20], v[8:9]
	v_fma_f64 v[8:9], v[29:30], v[19:20], v[21:22]
	ds_store_b128 v255, v[0:3] offset:9600
	ds_store_b128 v10, v[6:9] offset:38400
	ds_load_b128 v[0:3], v255 offset:11200
	ds_load_b128 v[6:9], v10 offset:36800
	global_load_b128 v[19:22], v[23:24], off offset:2112
	s_waitcnt lgkmcnt(0)
	v_add_f64 v[25:26], v[0:1], v[6:7]
	v_add_f64 v[27:28], v[8:9], v[2:3]
	v_add_f64 v[29:30], v[0:1], -v[6:7]
	v_add_f64 v[0:1], v[2:3], -v[8:9]
	s_waitcnt vmcnt(2)
	s_delay_alu instid0(VALU_DEP_2) | instskip(NEXT) | instid1(VALU_DEP_2)
	v_fma_f64 v[2:3], v[29:30], v[17:18], v[25:26]
	v_fma_f64 v[6:7], v[27:28], v[17:18], v[0:1]
	v_fma_f64 v[8:9], -v[29:30], v[17:18], v[25:26]
	v_fma_f64 v[17:18], v[27:28], v[17:18], -v[0:1]
	s_delay_alu instid0(VALU_DEP_4) | instskip(NEXT) | instid1(VALU_DEP_4)
	v_fma_f64 v[0:1], -v[27:28], v[15:16], v[2:3]
	v_fma_f64 v[2:3], v[29:30], v[15:16], v[6:7]
	s_delay_alu instid0(VALU_DEP_4) | instskip(NEXT) | instid1(VALU_DEP_4)
	v_fma_f64 v[6:7], v[27:28], v[15:16], v[8:9]
	v_fma_f64 v[8:9], v[29:30], v[15:16], v[17:18]
	ds_store_b128 v255, v[0:3] offset:11200
	ds_store_b128 v10, v[6:9] offset:36800
	ds_load_b128 v[0:3], v255 offset:12800
	ds_load_b128 v[6:9], v10 offset:35200
	global_load_b128 v[15:18], v[23:24], off offset:3712
	s_waitcnt lgkmcnt(0)
	v_add_f64 v[23:24], v[0:1], v[6:7]
	v_add_f64 v[25:26], v[8:9], v[2:3]
	v_add_f64 v[27:28], v[0:1], -v[6:7]
	v_add_f64 v[0:1], v[2:3], -v[8:9]
	s_waitcnt vmcnt(2)
	s_delay_alu instid0(VALU_DEP_2) | instskip(NEXT) | instid1(VALU_DEP_2)
	v_fma_f64 v[2:3], v[27:28], v[13:14], v[23:24]
	v_fma_f64 v[6:7], v[25:26], v[13:14], v[0:1]
	v_fma_f64 v[8:9], -v[27:28], v[13:14], v[23:24]
	v_fma_f64 v[13:14], v[25:26], v[13:14], -v[0:1]
	v_add_co_u32 v23, s0, 0x4000, v4
	s_delay_alu instid0(VALU_DEP_1)
	v_add_co_ci_u32_e64 v24, s0, 0, v5, s0
	v_fma_f64 v[0:1], -v[25:26], v[11:12], v[2:3]
	v_fma_f64 v[2:3], v[27:28], v[11:12], v[6:7]
	v_fma_f64 v[6:7], v[25:26], v[11:12], v[8:9]
	;; [unrolled: 1-line block ×3, first 2 shown]
	ds_store_b128 v255, v[0:3] offset:12800
	ds_store_b128 v10, v[6:9] offset:35200
	ds_load_b128 v[0:3], v255 offset:14400
	ds_load_b128 v[6:9], v10 offset:33600
	global_load_b128 v[11:14], v[23:24], off offset:1216
	s_waitcnt lgkmcnt(0)
	v_add_f64 v[25:26], v[0:1], v[6:7]
	v_add_f64 v[27:28], v[8:9], v[2:3]
	v_add_f64 v[29:30], v[0:1], -v[6:7]
	v_add_f64 v[0:1], v[2:3], -v[8:9]
	s_waitcnt vmcnt(2)
	s_delay_alu instid0(VALU_DEP_2) | instskip(NEXT) | instid1(VALU_DEP_2)
	v_fma_f64 v[2:3], v[29:30], v[21:22], v[25:26]
	v_fma_f64 v[6:7], v[27:28], v[21:22], v[0:1]
	v_fma_f64 v[8:9], -v[29:30], v[21:22], v[25:26]
	v_fma_f64 v[21:22], v[27:28], v[21:22], -v[0:1]
	s_delay_alu instid0(VALU_DEP_4) | instskip(NEXT) | instid1(VALU_DEP_4)
	v_fma_f64 v[0:1], -v[27:28], v[19:20], v[2:3]
	v_fma_f64 v[2:3], v[29:30], v[19:20], v[6:7]
	s_delay_alu instid0(VALU_DEP_4) | instskip(NEXT) | instid1(VALU_DEP_4)
	v_fma_f64 v[6:7], v[27:28], v[19:20], v[8:9]
	v_fma_f64 v[8:9], v[29:30], v[19:20], v[21:22]
	ds_store_b128 v255, v[0:3] offset:14400
	ds_store_b128 v10, v[6:9] offset:33600
	ds_load_b128 v[0:3], v255 offset:16000
	ds_load_b128 v[6:9], v10 offset:32000
	global_load_b128 v[19:22], v[23:24], off offset:2816
	s_waitcnt lgkmcnt(0)
	v_add_f64 v[23:24], v[0:1], v[6:7]
	v_add_f64 v[25:26], v[8:9], v[2:3]
	v_add_f64 v[27:28], v[0:1], -v[6:7]
	v_add_f64 v[0:1], v[2:3], -v[8:9]
	s_waitcnt vmcnt(2)
	s_delay_alu instid0(VALU_DEP_2) | instskip(NEXT) | instid1(VALU_DEP_2)
	v_fma_f64 v[2:3], v[27:28], v[17:18], v[23:24]
	v_fma_f64 v[6:7], v[25:26], v[17:18], v[0:1]
	v_fma_f64 v[8:9], -v[27:28], v[17:18], v[23:24]
	v_fma_f64 v[17:18], v[25:26], v[17:18], -v[0:1]
	v_add_co_u32 v23, s0, 0x5000, v4
	s_delay_alu instid0(VALU_DEP_1)
	v_add_co_ci_u32_e64 v24, s0, 0, v5, s0
	s_mov_b32 s0, 0xe8584caa
	s_mov_b32 s1, 0x3febb67a
	s_mov_b32 s20, s0
	v_fma_f64 v[0:1], -v[25:26], v[15:16], v[2:3]
	v_fma_f64 v[2:3], v[27:28], v[15:16], v[6:7]
	v_fma_f64 v[6:7], v[25:26], v[15:16], v[8:9]
	;; [unrolled: 1-line block ×3, first 2 shown]
	ds_store_b128 v255, v[0:3] offset:16000
	ds_store_b128 v10, v[6:9] offset:32000
	ds_load_b128 v[0:3], v255 offset:17600
	ds_load_b128 v[6:9], v10 offset:30400
	global_load_b128 v[15:18], v[23:24], off offset:320
	s_waitcnt lgkmcnt(0)
	v_add_f64 v[4:5], v[0:1], v[6:7]
	v_add_f64 v[25:26], v[8:9], v[2:3]
	v_add_f64 v[6:7], v[0:1], -v[6:7]
	v_add_f64 v[0:1], v[2:3], -v[8:9]
	s_waitcnt vmcnt(2)
	s_delay_alu instid0(VALU_DEP_2) | instskip(NEXT) | instid1(VALU_DEP_2)
	v_fma_f64 v[2:3], v[6:7], v[13:14], v[4:5]
	v_fma_f64 v[8:9], v[25:26], v[13:14], v[0:1]
	v_fma_f64 v[4:5], -v[6:7], v[13:14], v[4:5]
	v_fma_f64 v[13:14], v[25:26], v[13:14], -v[0:1]
	s_delay_alu instid0(VALU_DEP_4) | instskip(NEXT) | instid1(VALU_DEP_4)
	v_fma_f64 v[0:1], -v[25:26], v[11:12], v[2:3]
	v_fma_f64 v[2:3], v[6:7], v[11:12], v[8:9]
	s_delay_alu instid0(VALU_DEP_4) | instskip(NEXT) | instid1(VALU_DEP_4)
	v_fma_f64 v[4:5], v[25:26], v[11:12], v[4:5]
	v_fma_f64 v[6:7], v[6:7], v[11:12], v[13:14]
	ds_store_b128 v255, v[0:3] offset:17600
	ds_store_b128 v10, v[4:7] offset:30400
	ds_load_b128 v[0:3], v255 offset:19200
	ds_load_b128 v[4:7], v10 offset:28800
	global_load_b128 v[11:14], v[23:24], off offset:1920
	s_waitcnt lgkmcnt(0)
	v_add_f64 v[8:9], v[0:1], v[4:5]
	v_add_f64 v[23:24], v[6:7], v[2:3]
	v_add_f64 v[25:26], v[0:1], -v[4:5]
	v_add_f64 v[0:1], v[2:3], -v[6:7]
	s_waitcnt vmcnt(2)
	s_delay_alu instid0(VALU_DEP_2) | instskip(NEXT) | instid1(VALU_DEP_2)
	v_fma_f64 v[2:3], v[25:26], v[21:22], v[8:9]
	v_fma_f64 v[4:5], v[23:24], v[21:22], v[0:1]
	v_fma_f64 v[6:7], -v[25:26], v[21:22], v[8:9]
	v_fma_f64 v[8:9], v[23:24], v[21:22], -v[0:1]
	s_delay_alu instid0(VALU_DEP_4) | instskip(NEXT) | instid1(VALU_DEP_4)
	v_fma_f64 v[0:1], -v[23:24], v[19:20], v[2:3]
	v_fma_f64 v[2:3], v[25:26], v[19:20], v[4:5]
	s_delay_alu instid0(VALU_DEP_4) | instskip(NEXT) | instid1(VALU_DEP_4)
	v_fma_f64 v[4:5], v[23:24], v[19:20], v[6:7]
	v_fma_f64 v[6:7], v[25:26], v[19:20], v[8:9]
	ds_store_b128 v255, v[0:3] offset:19200
	ds_store_b128 v10, v[4:7] offset:28800
	ds_load_b128 v[0:3], v255 offset:20800
	ds_load_b128 v[4:7], v10 offset:27200
	s_waitcnt lgkmcnt(0)
	v_add_f64 v[8:9], v[0:1], v[4:5]
	v_add_f64 v[19:20], v[6:7], v[2:3]
	v_add_f64 v[21:22], v[0:1], -v[4:5]
	v_add_f64 v[0:1], v[2:3], -v[6:7]
	s_waitcnt vmcnt(1)
	s_delay_alu instid0(VALU_DEP_2) | instskip(NEXT) | instid1(VALU_DEP_2)
	v_fma_f64 v[2:3], v[21:22], v[17:18], v[8:9]
	v_fma_f64 v[4:5], v[19:20], v[17:18], v[0:1]
	v_fma_f64 v[6:7], -v[21:22], v[17:18], v[8:9]
	v_fma_f64 v[8:9], v[19:20], v[17:18], -v[0:1]
	s_delay_alu instid0(VALU_DEP_4) | instskip(NEXT) | instid1(VALU_DEP_4)
	v_fma_f64 v[0:1], -v[19:20], v[15:16], v[2:3]
	v_fma_f64 v[2:3], v[21:22], v[15:16], v[4:5]
	s_delay_alu instid0(VALU_DEP_4) | instskip(NEXT) | instid1(VALU_DEP_4)
	v_fma_f64 v[4:5], v[19:20], v[15:16], v[6:7]
	v_fma_f64 v[6:7], v[21:22], v[15:16], v[8:9]
	ds_store_b128 v255, v[0:3] offset:20800
	ds_store_b128 v10, v[4:7] offset:27200
	ds_load_b128 v[0:3], v255 offset:22400
	ds_load_b128 v[4:7], v10 offset:25600
	s_waitcnt lgkmcnt(0)
	v_add_f64 v[8:9], v[0:1], v[4:5]
	v_add_f64 v[15:16], v[6:7], v[2:3]
	v_add_f64 v[17:18], v[0:1], -v[4:5]
	v_add_f64 v[0:1], v[2:3], -v[6:7]
	s_waitcnt vmcnt(0)
	s_delay_alu instid0(VALU_DEP_2) | instskip(NEXT) | instid1(VALU_DEP_2)
	v_fma_f64 v[2:3], v[17:18], v[13:14], v[8:9]
	v_fma_f64 v[4:5], v[15:16], v[13:14], v[0:1]
	v_fma_f64 v[6:7], -v[17:18], v[13:14], v[8:9]
	v_fma_f64 v[8:9], v[15:16], v[13:14], -v[0:1]
	s_delay_alu instid0(VALU_DEP_4) | instskip(NEXT) | instid1(VALU_DEP_4)
	v_fma_f64 v[19:20], -v[15:16], v[11:12], v[2:3]
	v_fma_f64 v[21:22], v[17:18], v[11:12], v[4:5]
	s_delay_alu instid0(VALU_DEP_4) | instskip(NEXT) | instid1(VALU_DEP_4)
	v_fma_f64 v[4:5], v[15:16], v[11:12], v[6:7]
	v_fma_f64 v[6:7], v[17:18], v[11:12], v[8:9]
	v_add_nc_u32_e32 v3, 0x12c, v116
	v_and_b32_e32 v2, 0xff, v116
	scratch_store_b32 off, v2, off offset:20 ; 4-byte Folded Spill
	ds_store_b128 v255, v[19:22] offset:22400
	ds_store_b128 v10, v[4:7] offset:25600
	s_waitcnt lgkmcnt(0)
	s_waitcnt_vscnt null, 0x0
	s_barrier
	buffer_gl0_inv
	s_barrier
	buffer_gl0_inv
	ds_load_b128 v[54:57], v255 offset:9600
	ds_load_b128 v[68:71], v255 offset:8000
	ds_load_b128 v[78:81], v255
	ds_load_b128 v[48:51], v255 offset:46400
	ds_load_b128 v[82:85], v255 offset:19200
	;; [unrolled: 1-line block ×27, first 2 shown]
	s_waitcnt lgkmcnt(27)
	v_add_f64 v[76:77], v[78:79], v[54:55]
	v_add_f64 v[110:111], v[80:81], v[56:57]
	s_waitcnt lgkmcnt(21)
	v_add_f64 v[130:131], v[86:87], v[72:73]
	s_waitcnt lgkmcnt(19)
	;; [unrolled: 2-line block ×3, first 2 shown]
	v_add_f64 v[136:137], v[54:55], v[12:13]
	v_add_f64 v[138:139], v[84:85], v[30:31]
	v_add_f64 v[226:227], v[84:85], -v[30:31]
	v_add_f64 v[198:199], v[54:55], -v[82:83]
	v_add_f64 v[203:204], v[82:83], -v[54:55]
	v_add_f64 v[0:1], v[82:83], -v[28:29]
	v_add_f64 v[207:208], v[56:57], -v[84:85]
	v_add_f64 v[209:210], v[84:85], -v[56:57]
	s_waitcnt lgkmcnt(7)
	v_add_f64 v[152:153], v[126:127], v[118:119]
	v_add_f64 v[132:133], v[88:89], v[74:75]
	;; [unrolled: 1-line block ×7, first 2 shown]
	v_add_f64 v[218:219], v[30:31], -v[14:15]
	v_add_f64 v[150:151], v[72:73], v[16:17]
	s_waitcnt lgkmcnt(3)
	v_add_f64 v[158:159], v[122:123], v[44:45]
	v_add_f64 v[164:165], v[124:125], v[46:47]
	s_waitcnt lgkmcnt(1)
	v_add_f64 v[174:175], v[118:119], v[20:21]
	v_add_f64 v[180:181], v[92:93], v[100:101]
	;; [unrolled: 1-line block ×9, first 2 shown]
	s_waitcnt lgkmcnt(0)
	v_add_f64 v[112:113], v[190:191], v[4:5]
	v_add_f64 v[239:240], v[192:193], v[6:7]
	v_add_f64 v[52:53], v[56:57], -v[14:15]
	v_add_f64 v[201:202], v[12:13], -v[28:29]
	v_add_f64 v[142:143], v[106:107], v[36:37]
	v_add_f64 v[220:221], v[72:73], -v[106:107]
	v_add_f64 v[76:77], v[76:77], v[82:83]
	;; [unrolled: 2-line block ×3, first 2 shown]
	v_add_f64 v[56:57], v[106:107], -v[36:37]
	v_fma_f64 v[130:131], v[136:137], -0.5, v[78:79]
	v_add_f64 v[160:161], v[108:109], -v[74:75]
	v_add_f64 v[235:236], v[38:39], -v[18:19]
	;; [unrolled: 1-line block ×6, first 2 shown]
	v_add_f64 v[253:254], v[194:195], v[40:41]
	v_add_f64 v[241:242], v[102:103], v[24:25]
	;; [unrolled: 1-line block ×3, first 2 shown]
	v_add_f64 v[169:170], v[124:125], -v[120:121]
	v_add_f64 v[106:107], v[192:193], -v[196:197]
	;; [unrolled: 1-line block ×10, first 2 shown]
	v_add_f64 v[176:177], v[120:121], v[22:23]
	v_add_f64 v[205:206], v[28:29], -v[12:13]
	v_add_f64 v[66:67], v[72:73], -v[16:17]
	;; [unrolled: 1-line block ×4, first 2 shown]
	v_add_f64 v[237:238], v[94:95], v[48:49]
	v_add_f64 v[231:232], v[36:37], -v[16:17]
	v_add_f64 v[166:167], v[44:45], -v[20:21]
	;; [unrolled: 1-line block ×3, first 2 shown]
	v_fma_f64 v[142:143], v[142:143], -0.5, v[86:87]
	scratch_store_b64 off, v[76:77], off offset:64 ; 8-byte Folded Spill
	v_add_f64 v[76:77], v[110:111], v[84:85]
	v_fma_f64 v[84:85], v[134:135], -0.5, v[78:79]
	v_fma_f64 v[78:79], v[138:139], -0.5, v[80:81]
	scratch_store_b64 off, v[0:1], off offset:40 ; 8-byte Folded Spill
	v_add_f64 v[0:1], v[120:121], -v[124:125]
	v_fma_f64 v[138:139], v[148:149], -0.5, v[88:89]
	v_fma_f64 v[134:135], v[174:175], -0.5, v[126:127]
	;; [unrolled: 1-line block ×3, first 2 shown]
	v_add_f64 v[184:185], v[196:197], -v[192:193]
	v_add_f64 v[120:121], v[22:23], -v[46:47]
	;; [unrolled: 1-line block ×3, first 2 shown]
	v_fma_f64 v[136:137], v[176:177], -0.5, v[128:129]
	v_add_f64 v[176:177], v[194:195], -v[190:191]
	v_fma_f64 v[237:238], v[237:238], -0.5, v[68:69]
	v_add_f64 v[222:223], v[222:223], v[231:232]
	v_add_nc_u32_e32 v231, 0x258, v116
	v_add_nc_u32_e32 v232, 0x2bc, v116
	scratch_store_b64 off, v[76:77], off offset:72 ; 8-byte Folded Spill
	v_add_f64 v[76:77], v[146:147], -v[34:35]
	scratch_store_b64 off, v[78:79], off offset:56 ; 8-byte Folded Spill
	v_add_f64 v[78:79], v[152:153], v[122:123]
	scratch_store_b64 off, v[82:83], off offset:80 ; 8-byte Folded Spill
	v_add_f64 v[82:83], v[132:133], v[108:109]
	v_fma_f64 v[132:133], v[140:141], -0.5, v[80:81]
	v_add_f64 v[140:141], v[70:71], v[96:97]
	v_fma_f64 v[152:153], v[150:151], -0.5, v[86:87]
	v_add_f64 v[150:151], v[146:147], -v[100:101]
	v_fma_f64 v[122:123], v[158:159], -0.5, v[126:127]
	v_fma_f64 v[126:127], v[164:165], -0.5, v[128:129]
	;; [unrolled: 1-line block ×4, first 2 shown]
	v_add_f64 v[90:91], v[192:193], -v[6:7]
	v_add_f64 v[192:193], v[104:105], -v[96:97]
	v_fma_f64 v[245:246], v[253:254], -0.5, v[186:187]
	v_fma_f64 v[253:254], v[211:212], -0.5, v[70:71]
	v_add_f64 v[108:109], v[98:99], -v[144:145]
	v_add_f64 v[80:81], v[144:145], -v[32:33]
	;; [unrolled: 1-line block ×6, first 2 shown]
	scratch_store_b64 off, v[78:79], off offset:96 ; 8-byte Folded Spill
	v_add_f64 v[78:79], v[156:157], v[124:125]
	v_fma_f64 v[156:157], v[154:155], -0.5, v[88:89]
	v_add_f64 v[88:89], v[178:179], v[144:145]
	v_add_f64 v[124:125], v[100:101], -v[146:147]
	v_add_f64 v[178:179], v[249:250], v[194:195]
	v_fma_f64 v[249:250], v[112:113], -0.5, v[186:187]
	v_add_f64 v[112:113], v[96:97], -v[104:105]
	v_add_f64 v[154:155], v[8:9], -v[32:33]
	;; [unrolled: 1-line block ×3, first 2 shown]
	scratch_store_b64 off, v[78:79], off offset:104 ; 8-byte Folded Spill
	v_add_f64 v[78:79], v[196:197], -v[42:43]
	scratch_store_b64 off, v[88:89], off offset:112 ; 8-byte Folded Spill
	v_add_f64 v[88:89], v[180:181], v[146:147]
	v_fma_f64 v[146:147], v[243:244], -0.5, v[92:93]
	v_add_f64 v[180:181], v[251:252], v[196:197]
	v_add_f64 v[92:93], v[104:105], -v[26:27]
	v_fma_f64 v[243:244], v[214:215], -0.5, v[188:189]
	v_fma_f64 v[251:252], v[239:240], -0.5, v[188:189]
	v_add_f64 v[188:189], v[140:141], v[104:105]
	v_add_f64 v[104:105], v[209:210], v[218:219]
	v_mov_b32_e32 v219, v3
	v_mul_lo_u16 v168, 0xcd, v2
	v_and_b32_e32 v2, 0xff, v117
	scratch_store_b64 off, v[0:1], off offset:8 ; 8-byte Folded Spill
	v_add_f64 v[0:1], v[96:97], v[50:51]
	v_fma_f64 v[239:240], v[241:242], -0.5, v[68:69]
	v_add_f64 v[108:109], v[108:109], v[154:155]
	scratch_store_b32 off, v2, off offset:16 ; 4-byte Folded Spill
	v_mul_lo_u16 v155, 0xcd, v2
	v_add_f64 v[196:197], v[171:172], v[118:119]
	v_add_f64 v[118:119], v[50:51], -v[26:27]
	v_add_f64 v[214:215], v[94:95], -v[102:103]
	;; [unrolled: 1-line block ×3, first 2 shown]
	v_add_f64 v[210:211], v[124:125], v[128:129]
	v_add_f64 v[124:125], v[42:43], -v[6:7]
	v_add_f64 v[128:129], v[24:25], -v[48:49]
	v_add_nc_u32_e32 v218, 0x190, v116
	scratch_store_b64 off, v[88:89], off offset:120 ; 8-byte Folded Spill
	v_add_f64 v[88:89], v[190:191], -v[4:5]
	v_add_f64 v[190:191], v[102:103], -v[94:95]
	v_fma_f64 v[241:242], v[0:1], -0.5, v[70:71]
	v_add_f64 v[70:71], v[198:199], v[201:202]
	v_add_f64 v[198:199], v[160:161], v[235:236]
	scratch_load_b64 v[160:161], off, off offset:8 ; 8-byte Folded Reload
	v_add_f64 v[0:1], v[207:208], v[216:217]
	v_add_nc_u32_e32 v216, 0xc8, v116
	scratch_store_b64 off, v[84:85], off offset:48 ; 8-byte Folded Spill
	v_mov_b32_e32 v236, v117
	v_and_b32_e32 v154, 0xffff, v3
	scratch_load_b64 v[2:3], off, off offset:48 ; 8-byte Folded Reload
	v_add_f64 v[84:85], v[100:101], -v[10:11]
	v_add_f64 v[100:101], v[96:97], -v[50:51]
	v_add_f64 v[96:97], v[220:221], v[228:229]
	v_add_f64 v[220:221], v[6:7], -v[42:43]
	v_add_f64 v[228:229], v[203:204], v[205:206]
	v_lshl_add_u32 v235, v200, 4, 0
	v_add_f64 v[208:209], v[169:170], v[162:163]
	v_add_f64 v[140:141], v[150:151], v[140:141]
	v_and_b32_e32 v150, 0xffff, v218
	v_and_b32_e32 v151, 0xffff, v230
	v_add_f64 v[206:207], v[182:183], v[166:167]
	v_fma_f64 v[166:167], v[60:61], s[14:15], v[152:153]
	v_fma_f64 v[152:153], v[60:61], s[10:11], v[152:153]
	v_mul_u32_u24_e32 v150, 0xcccd, v150
	v_mul_u32_u24_e32 v151, 0xcccd, v151
	v_fma_f64 v[182:183], v[80:81], s[10:11], v[164:165]
	v_mul_u32_u24_e32 v154, 0xcccd, v154
	v_add_f64 v[42:43], v[180:181], v[42:43]
	v_lshrrev_b32_e32 v174, 19, v150
	v_lshrrev_b32_e32 v175, 19, v151
	v_fma_f64 v[180:181], v[74:75], s[14:15], v[126:127]
	v_lshrrev_b32_e32 v213, 19, v154
	v_fma_f64 v[126:127], v[74:75], s[10:11], v[126:127]
	v_fma_f64 v[164:165], v[80:81], s[14:15], v[164:165]
	scratch_load_b64 v[170:171], off, off offset:56 ; 8-byte Folded Reload
	scratch_store_b64 off, v[0:1], off offset:32 ; 8-byte Folded Spill
	v_and_b32_e32 v1, 0xffff, v216
	v_lshrrev_b16 v0, 11, v168
	s_clause 0x2
	scratch_store_b32 off, v1, off offset:8
	scratch_store_b32 off, v0, off offset:24
	scratch_store_b64 off, v[82:83], off offset:88
	v_add_f64 v[82:83], v[68:69], v[94:95]
	v_add_f64 v[204:205], v[106:107], v[220:221]
	v_add_f64 v[68:69], v[4:5], -v[40:41]
	v_fma_f64 v[172:173], v[84:85], s[10:11], v[148:149]
	v_fma_f64 v[148:149], v[84:85], s[14:15], v[148:149]
	v_add_f64 v[42:43], v[42:43], v[6:7]
	v_add_f64 v[186:187], v[82:83], v[102:103]
	v_add_f64 v[102:103], v[94:95], -v[48:49]
	v_add_f64 v[94:95], v[224:225], v[233:234]
	v_add_nc_u32_e32 v233, 0x320, v116
	v_add_nc_u32_e32 v234, 0x384, v116
	v_add_f64 v[82:83], v[32:33], -v[8:9]
	v_add_f64 v[224:225], v[48:49], -v[24:25]
	v_add_f64 v[202:203], v[144:145], v[68:69]
	v_and_b32_e32 v106, 0xffff, v233
	v_and_b32_e32 v107, 0xffff, v234
	;; [unrolled: 1-line block ×4, first 2 shown]
	s_delay_alu instid0(VALU_DEP_3) | instskip(NEXT) | instid1(VALU_DEP_3)
	v_mul_u32_u24_e32 v162, 0xcccd, v107
	v_mul_u32_u24_e32 v144, 0xcccd, v144
	s_delay_alu instid0(VALU_DEP_3) | instskip(NEXT) | instid1(VALU_DEP_2)
	v_mul_u32_u24_e32 v145, 0xcccd, v145
	v_lshrrev_b32_e32 v194, 19, v144
	s_delay_alu instid0(VALU_DEP_2)
	v_lshrrev_b32_e32 v221, 19, v145
	v_add_f64 v[24:25], v[186:187], v[24:25]
	v_fma_f64 v[186:187], v[58:59], s[14:15], v[134:135]
	v_fma_f64 v[134:135], v[58:59], s[10:11], v[134:135]
	v_add_f64 v[82:83], v[110:111], v[82:83]
	v_add_f64 v[68:69], v[214:215], v[224:225]
	v_lshrrev_b32_e32 v225, 19, v162
	v_add_f64 v[110:111], v[26:27], -v[50:51]
	v_add_f64 v[26:27], v[188:189], v[26:27]
	v_fma_f64 v[188:189], v[62:63], s[10:11], v[136:137]
	v_fma_f64 v[136:137], v[62:63], s[14:15], v[136:137]
	;; [unrolled: 1-line block ×3, first 2 shown]
	v_add_f64 v[24:25], v[24:25], v[48:49]
	v_add_f64 v[110:111], v[192:193], v[110:111]
	;; [unrolled: 1-line block ×3, first 2 shown]
	v_fma_f64 v[192:193], v[100:101], s[14:15], v[239:240]
	s_waitcnt vmcnt(2)
	v_add_f64 v[200:201], v[160:161], v[120:121]
	v_mul_u32_u24_e32 v161, 0xcccd, v106
	v_add_f64 v[106:107], v[112:113], v[118:119]
	v_mul_lo_u16 v112, v0, 10
	v_lshrrev_b16 v0, 11, v155
	v_mul_u32_u24_e32 v160, 0xcccd, v1
	v_add_f64 v[120:121], v[40:41], -v[4:5]
	v_lshrrev_b32_e32 v224, 19, v161
	v_sub_nc_u16 v112, v116, v112
	scratch_store_b32 off, v0, off offset:28 ; 4-byte Folded Spill
	v_mul_lo_u16 v195, v0, 10
	scratch_load_b64 v[0:1], off, off offset:64 ; 8-byte Folded Reload
	v_lshrrev_b32_e32 v212, 19, v160
	v_and_b32_e32 v220, 0xff, v112
	v_add_f64 v[118:119], v[184:185], v[124:125]
	v_add_f64 v[40:41], v[178:179], v[40:41]
	v_fma_f64 v[124:125], v[64:65], s[10:11], v[142:143]
	v_fma_f64 v[160:161], v[226:227], s[14:15], v[130:131]
	;; [unrolled: 1-line block ×6, first 2 shown]
	s_waitcnt vmcnt(2)
	v_fma_f64 v[144:145], v[52:53], s[10:11], v[2:3]
	v_fma_f64 v[154:155], v[56:57], s[10:11], v[156:157]
	;; [unrolled: 1-line block ×7, first 2 shown]
	v_add_f64 v[112:113], v[176:177], v[120:121]
	v_add_f64 v[120:121], v[190:191], v[128:129]
	v_fma_f64 v[128:129], v[66:67], s[14:15], v[138:139]
	v_fma_f64 v[190:191], v[98:99], s[14:15], v[241:242]
	;; [unrolled: 1-line block ×5, first 2 shown]
	v_add_f64 v[40:41], v[40:41], v[4:5]
	v_fma_f64 v[4:5], v[64:65], s[12:13], v[152:153]
	v_fma_f64 v[160:161], v[52:53], s[4:5], v[160:161]
	;; [unrolled: 1-line block ×15, first 2 shown]
	v_mul_u32_u24_e32 v227, 0x1e0, v224
	v_fma_f64 v[128:129], v[56:57], s[12:13], v[128:129]
	v_fma_f64 v[56:57], v[56:57], s[4:5], v[138:139]
	;; [unrolled: 1-line block ×11, first 2 shown]
	s_waitcnt vmcnt(0)
	v_add_f64 v[28:29], v[0:1], v[28:29]
	scratch_load_b64 v[0:1], off, off offset:72 ; 8-byte Folded Reload
	v_add_f64 v[12:13], v[28:29], v[12:13]
	v_fma_f64 v[28:29], v[100:101], s[10:11], v[239:240]
	v_fma_f64 v[239:240], v[78:79], s[10:11], v[249:250]
	s_delay_alu instid0(VALU_DEP_2) | instskip(NEXT) | instid1(VALU_DEP_1)
	v_fma_f64 v[28:29], v[92:93], s[4:5], v[28:29]
	v_fma_f64 v[28:29], v[68:69], s[16:17], v[28:29]
	s_waitcnt vmcnt(0)
	v_add_f64 v[30:31], v[0:1], v[30:31]
	scratch_load_b64 v[0:1], off, off offset:80 ; 8-byte Folded Reload
	v_add_f64 v[14:15], v[30:31], v[14:15]
	v_fma_f64 v[30:31], v[102:103], s[14:15], v[253:254]
	s_delay_alu instid0(VALU_DEP_1) | instskip(NEXT) | instid1(VALU_DEP_1)
	v_fma_f64 v[30:31], v[98:99], s[12:13], v[30:31]
	v_fma_f64 v[30:31], v[106:107], s[16:17], v[30:31]
	s_waitcnt vmcnt(0)
	v_add_f64 v[36:37], v[0:1], v[36:37]
	scratch_load_b64 v[0:1], off, off offset:88 ; 8-byte Folded Reload
	v_add_f64 v[16:17], v[36:37], v[16:17]
	v_fma_f64 v[36:37], v[90:91], s[10:11], v[245:246]
	v_fma_f64 v[245:246], v[90:91], s[14:15], v[245:246]
	s_delay_alu instid0(VALU_DEP_2)
	v_fma_f64 v[36:37], v[78:79], s[4:5], v[36:37]
	s_waitcnt vmcnt(0)
	v_add_f64 v[38:39], v[0:1], v[38:39]
	scratch_load_b64 v[0:1], off, off offset:96 ; 8-byte Folded Reload
	v_add_f64 v[18:19], v[38:39], v[18:19]
	v_fma_f64 v[38:39], v[88:89], s[14:15], v[243:244]
	v_fma_f64 v[243:244], v[88:89], s[10:11], v[243:244]
	s_delay_alu instid0(VALU_DEP_3)
	v_add_f64 v[2:3], v[14:15], v[18:19]
	v_add_f64 v[6:7], v[14:15], -v[18:19]
	v_add_f64 v[18:19], v[42:43], v[26:27]
	v_fma_f64 v[38:39], v[247:248], s[12:13], v[38:39]
	v_fma_f64 v[158:159], v[247:248], s[4:5], v[243:244]
	s_waitcnt vmcnt(0)
	v_add_f64 v[44:45], v[0:1], v[44:45]
	scratch_load_b64 v[0:1], off, off offset:104 ; 8-byte Folded Reload
	v_add_f64 v[20:21], v[44:45], v[20:21]
	v_fma_f64 v[44:45], v[98:99], s[10:11], v[241:242]
	v_fma_f64 v[241:242], v[247:248], s[14:15], v[251:252]
	;; [unrolled: 1-line block ×3, first 2 shown]
	s_delay_alu instid0(VALU_DEP_3) | instskip(SKIP_1) | instid1(VALU_DEP_2)
	v_fma_f64 v[44:45], v[102:103], s[12:13], v[44:45]
	v_fma_f64 v[102:103], v[102:103], s[4:5], v[190:191]
	;; [unrolled: 1-line block ×3, first 2 shown]
	s_waitcnt vmcnt(0)
	v_add_f64 v[46:47], v[0:1], v[46:47]
	scratch_load_b64 v[0:1], off, off offset:112 ; 8-byte Folded Reload
	v_add_f64 v[22:23], v[46:47], v[22:23]
	v_fma_f64 v[46:47], v[92:93], s[14:15], v[237:238]
	s_delay_alu instid0(VALU_DEP_1) | instskip(NEXT) | instid1(VALU_DEP_1)
	v_fma_f64 v[46:47], v[100:101], s[4:5], v[46:47]
	v_fma_f64 v[46:47], v[120:121], s[16:17], v[46:47]
	s_waitcnt vmcnt(0)
	v_add_f64 v[32:33], v[0:1], v[32:33]
	scratch_load_b64 v[0:1], off, off offset:120 ; 8-byte Folded Reload
	v_add_f64 v[32:33], v[32:33], v[8:9]
	v_fma_f64 v[8:9], v[78:79], s[14:15], v[249:250]
	v_fma_f64 v[78:79], v[78:79], s[12:13], v[245:246]
	s_delay_alu instid0(VALU_DEP_2) | instskip(NEXT) | instid1(VALU_DEP_4)
	v_fma_f64 v[126:127], v[90:91], s[4:5], v[8:9]
	v_add_f64 v[8:9], v[20:21], v[32:33]
	v_fma_f64 v[90:91], v[90:91], s[12:13], v[239:240]
	s_waitcnt vmcnt(0)
	v_add_f64 v[34:35], v[0:1], v[34:35]
	scratch_load_b64 v[0:1], off, off offset:40 ; 8-byte Folded Reload
	v_fma_f64 v[150:151], v[54:55], s[14:15], v[170:171]
	v_fma_f64 v[170:171], v[54:55], s[10:11], v[170:171]
	v_add_f64 v[34:35], v[34:35], v[10:11]
	v_fma_f64 v[10:11], v[92:93], s[10:11], v[237:238]
	v_fma_f64 v[237:238], v[247:248], s[10:11], v[251:252]
	v_mov_b32_e32 v251, v116
	v_fma_f64 v[116:117], v[60:61], s[4:5], v[124:125]
	v_fma_f64 v[60:61], v[60:61], s[12:13], v[142:143]
	v_fma_f64 v[142:143], v[58:59], s[4:5], v[178:179]
	v_fma_f64 v[58:59], v[58:59], s[12:13], v[122:123]
	v_fma_f64 v[92:93], v[92:93], s[12:13], v[192:193]
	v_add_f64 v[14:15], v[22:23], -v[34:35]
	v_fma_f64 v[100:101], v[100:101], s[12:13], v[10:11]
	v_add_f64 v[10:11], v[22:23], v[34:35]
	v_add_f64 v[22:23], v[42:43], -v[26:27]
	v_fma_f64 v[122:123], v[96:97], s[16:17], v[116:117]
	v_fma_f64 v[60:61], v[96:97], s[16:17], v[60:61]
	v_mul_f64 v[26:27], v[146:147], s[14:15]
	v_fma_f64 v[116:117], v[210:211], s[16:17], v[138:139]
	v_fma_f64 v[68:69], v[68:69], s[16:17], v[92:93]
	;; [unrolled: 1-line block ×6, first 2 shown]
	v_mul_f64 v[144:145], v[44:45], s[10:11]
	v_mul_f64 v[98:99], v[122:123], s[12:13]
	;; [unrolled: 1-line block ×3, first 2 shown]
	s_waitcnt vmcnt(0)
	v_fma_f64 v[162:163], v[0:1], s[10:11], v[132:133]
	v_fma_f64 v[132:133], v[0:1], s[14:15], v[132:133]
	;; [unrolled: 1-line block ×5, first 2 shown]
	v_add_f64 v[0:1], v[12:13], v[16:17]
	v_fma_f64 v[86:87], v[86:87], s[4:5], v[164:165]
	v_mul_f64 v[164:165], v[68:69], s[18:19]
	v_fma_f64 v[130:131], v[54:55], s[12:13], v[162:163]
	v_fma_f64 v[54:55], v[54:55], s[4:5], v[132:133]
	v_fma_f64 v[132:133], v[76:77], s[4:5], v[172:173]
	v_fma_f64 v[76:77], v[76:77], s[12:13], v[148:149]
	v_fma_f64 v[148:149], v[222:223], s[16:17], v[4:5]
	v_add_f64 v[4:5], v[12:13], -v[16:17]
	v_add_f64 v[12:13], v[20:21], -v[32:33]
	v_fma_f64 v[32:33], v[82:83], s[16:17], v[84:85]
	v_fma_f64 v[34:35], v[140:141], s[16:17], v[86:87]
	;; [unrolled: 1-line block ×4, first 2 shown]
	v_add_f64 v[16:17], v[40:41], v[24:25]
	v_add_f64 v[20:21], v[40:41], -v[24:25]
	v_mul_f64 v[24:25], v[136:137], s[10:11]
	v_fma_f64 v[40:41], v[70:71], s[16:17], v[66:67]
	v_mul_f64 v[100:101], v[64:65], s[16:17]
	v_mul_f64 v[110:111], v[60:61], s[18:19]
	;; [unrolled: 1-line block ×3, first 2 shown]
	v_fma_f64 v[70:71], v[70:71], s[16:17], v[48:49]
	v_fma_f64 v[102:103], v[228:229], s[16:17], v[160:161]
	;; [unrolled: 1-line block ×3, first 2 shown]
	v_mul_u32_u24_e32 v228, 0x1e0, v225
	v_fma_f64 v[54:55], v[104:105], s[16:17], v[54:55]
	v_fma_f64 v[96:97], v[108:109], s[16:17], v[132:133]
	;; [unrolled: 1-line block ×5, first 2 shown]
	scratch_load_b64 v[128:129], off, off offset:32 ; 8-byte Folded Reload
	v_fma_f64 v[76:77], v[108:109], s[16:17], v[76:77]
	v_mul_f64 v[94:95], v[122:123], s[18:19]
	v_mul_f64 v[66:67], v[148:149], s[16:17]
	v_fma_f64 v[108:109], v[104:105], s[16:17], v[130:131]
	v_mul_f64 v[130:131], v[34:35], s[16:17]
	v_mul_f64 v[140:141], v[80:81], s[18:19]
	;; [unrolled: 1-line block ×5, first 2 shown]
	v_fma_f64 v[146:147], v[146:147], s[16:17], v[24:25]
	v_fma_f64 v[56:57], v[56:57], s[4:5], -v[110:111]
	v_fma_f64 v[110:111], v[202:203], s[16:17], v[36:37]
	s_waitcnt vmcnt(0)
	s_waitcnt_vscnt null, 0x0
	s_barrier
	buffer_gl0_inv
	v_mul_f64 v[122:123], v[96:97], s[18:19]
	v_mul_f64 v[96:97], v[96:97], s[12:13]
	;; [unrolled: 1-line block ×5, first 2 shown]
	v_fma_f64 v[94:95], v[82:83], s[4:5], v[94:95]
	v_fma_f64 v[82:83], v[82:83], s[18:19], v[98:99]
	v_fma_f64 v[64:65], v[64:65], s[10:11], -v[66:67]
	v_fma_f64 v[66:67], v[148:149], s[14:15], -v[100:101]
	v_fma_f64 v[100:101], v[196:197], s[16:17], v[58:59]
	v_fma_f64 v[58:59], v[60:61], s[12:13], -v[120:121]
	v_fma_f64 v[148:149], v[200:201], s[16:17], v[62:63]
	v_fma_f64 v[98:99], v[206:207], s[16:17], v[154:155]
	;; [unrolled: 1-line block ×5, first 2 shown]
	v_add_f64 v[36:37], v[102:103], -v[146:147]
	v_add_f64 v[38:39], v[108:109], -v[136:137]
	v_fma_f64 v[60:61], v[116:117], s[4:5], v[122:123]
	v_fma_f64 v[62:63], v[116:117], s[18:19], v[96:97]
	;; [unrolled: 1-line block ×7, first 2 shown]
	v_fma_f64 v[90:91], v[32:33], s[14:15], -v[130:131]
	v_fma_f64 v[96:97], v[80:81], s[4:5], -v[106:107]
	;; [unrolled: 1-line block ×3, first 2 shown]
	v_fma_f64 v[122:123], v[118:119], s[16:17], v[134:135]
	v_fma_f64 v[134:135], v[46:47], s[16:17], v[144:145]
	v_fma_f64 v[140:141], v[44:45], s[16:17], v[152:153]
	v_fma_f64 v[144:145], v[84:85], s[14:15], -v[162:163]
	v_fma_f64 v[130:131], v[202:203], s[16:17], v[78:79]
	v_fma_f64 v[132:133], v[204:205], s[16:17], v[158:159]
	v_fma_f64 v[150:151], v[92:93], s[4:5], -v[164:165]
	v_fma_f64 v[152:153], v[68:69], s[12:13], -v[166:167]
	v_add_f64 v[24:25], v[40:41], v[94:95]
	v_add_f64 v[48:49], v[70:71], v[56:57]
	v_add_f64 v[44:45], v[52:53], -v[64:65]
	v_add_f64 v[46:47], v[54:55], -v[66:67]
	v_add_f64 v[68:69], v[98:99], -v[72:73]
	v_add_f64 v[78:79], v[168:169], -v[90:91]
	v_add_f64 v[80:81], v[100:101], v[96:97]
	v_add_f64 v[84:85], v[100:101], -v[96:97]
	v_add_f64 v[96:97], v[116:117], v[134:135]
	v_add_f64 v[100:101], v[116:117], -v[134:135]
	v_mul_lo_u16 v116, v174, 10
	v_sub_nc_u16 v117, v236, v195
	v_fma_f64 v[42:43], v[128:129], s[16:17], v[124:125]
	v_fma_f64 v[124:125], v[128:129], s[16:17], v[50:51]
	v_mul_f64 v[50:51], v[32:33], s[16:17]
	v_fma_f64 v[128:129], v[196:197], s[16:17], v[142:143]
	v_mul_f64 v[142:143], v[28:29], s[18:19]
	v_mul_f64 v[28:29], v[28:29], s[12:13]
	v_add_f64 v[32:33], v[102:103], v[146:147]
	v_add_f64 v[102:103], v[122:123], -v[140:141]
	v_add_f64 v[26:27], v[42:43], v[82:83]
	v_fma_f64 v[88:89], v[34:35], s[10:11], -v[50:51]
	v_add_f64 v[34:35], v[108:109], v[136:137]
	v_fma_f64 v[106:107], v[30:31], s[4:5], v[142:143]
	v_fma_f64 v[118:119], v[30:31], s[18:19], v[28:29]
	v_fma_f64 v[142:143], v[86:87], s[10:11], -v[160:161]
	v_add_f64 v[28:29], v[40:41], -v[94:95]
	v_add_f64 v[30:31], v[42:43], -v[82:83]
	v_add_f64 v[40:41], v[52:53], v[64:65]
	v_add_f64 v[42:43], v[54:55], v[66:67]
	;; [unrolled: 1-line block ×3, first 2 shown]
	v_add_f64 v[52:53], v[70:71], -v[56:57]
	v_add_f64 v[54:55], v[124:125], -v[58:59]
	v_add_f64 v[56:57], v[128:129], v[60:61]
	v_add_f64 v[58:59], v[138:139], v[62:63]
	;; [unrolled: 1-line block ×4, first 2 shown]
	v_add_f64 v[70:71], v[154:155], -v[74:75]
	v_add_f64 v[74:75], v[168:169], v[90:91]
	v_add_f64 v[82:83], v[148:149], v[104:105]
	v_add_f64 v[60:61], v[128:129], -v[60:61]
	v_add_f64 v[62:63], v[138:139], -v[62:63]
	;; [unrolled: 1-line block ×3, first 2 shown]
	v_add_f64 v[98:99], v[122:123], v[140:141]
	v_add_f64 v[108:109], v[130:131], v[150:151]
	v_add_f64 v[122:123], v[130:131], -v[150:151]
	v_add_f64 v[124:125], v[132:133], -v[152:153]
	v_add_f64 v[72:73], v[156:157], v[88:89]
	v_add_f64 v[76:77], v[156:157], -v[88:89]
	v_add_f64 v[88:89], v[110:111], v[106:107]
	v_add_f64 v[90:91], v[120:121], v[118:119]
	v_add_f64 v[92:93], v[110:111], -v[106:107]
	v_add_f64 v[104:105], v[112:113], v[142:143]
	v_add_f64 v[106:107], v[126:127], v[144:145]
	;; [unrolled: 1-line block ×3, first 2 shown]
	v_add_f64 v[94:95], v[120:121], -v[118:119]
	v_add_f64 v[118:119], v[112:113], -v[142:143]
	;; [unrolled: 1-line block ×3, first 2 shown]
	v_mul_lo_u16 v112, v212, 10
	v_mul_lo_u16 v113, v213, 10
	ds_store_b128 v235, v[0:3]
	ds_store_b128 v235, v[24:27] offset:16
	ds_store_b128 v235, v[32:35] offset:32
	;; [unrolled: 1-line block ×29, first 2 shown]
	v_mul_lo_u16 v8, v175, 10
	v_mul_lo_u16 v9, v194, 10
	;; [unrolled: 1-line block ×3, first 2 shown]
	v_sub_nc_u16 v11, v216, v112
	v_mul_lo_u16 v20, v224, 10
	v_mul_lo_u16 v36, v225, 10
	v_sub_nc_u16 v13, v219, v113
	v_sub_nc_u16 v8, v230, v8
	v_and_b32_e32 v81, 0xffff, v11
	v_sub_nc_u16 v11, v218, v116
	v_sub_nc_u16 v9, v231, v9
	;; [unrolled: 1-line block ×5, first 2 shown]
	v_and_b32_e32 v80, 0xff, v117
	v_and_b32_e32 v82, 0xffff, v13
	;; [unrolled: 1-line block ×8, first 2 shown]
	v_lshlrev_b32_e32 v126, 5, v220
	v_lshlrev_b32_e32 v12, 5, v80
	;; [unrolled: 1-line block ×10, first 2 shown]
	s_waitcnt lgkmcnt(0)
	s_barrier
	buffer_gl0_inv
	s_clause 0x13
	global_load_b128 v[0:3], v126, s[8:9]
	global_load_b128 v[4:7], v126, s[8:9] offset:16
	global_load_b128 v[72:75], v12, s[8:9]
	global_load_b128 v[32:35], v10, s[8:9]
	global_load_b128 v[68:71], v12, s[8:9] offset:16
	global_load_b128 v[8:11], v10, s[8:9] offset:16
	global_load_b128 v[64:67], v13, s[8:9]
	global_load_b128 v[56:59], v13, s[8:9] offset:16
	global_load_b128 v[12:15], v17, s[8:9]
	global_load_b128 v[24:27], v21, s[8:9]
	global_load_b128 v[16:19], v17, s[8:9] offset:16
	global_load_b128 v[20:23], v21, s[8:9] offset:16
	global_load_b128 v[28:31], v37, s[8:9]
	global_load_b128 v[36:39], v37, s[8:9] offset:16
	global_load_b128 v[40:43], v44, s[8:9]
	;; [unrolled: 2-line block ×4, first 2 shown]
	global_load_b128 v[76:79], v76, s[8:9] offset:16
	scratch_load_b32 v89, off, off offset:20 ; 4-byte Folded Reload
	v_lshlrev_b32_e32 v99, 4, v81
	v_lshlrev_b32_e32 v100, 4, v82
	v_lshlrev_b32_e32 v101, 4, v83
	v_lshlrev_b32_e32 v230, 4, v84
	v_mul_u32_u24_e32 v93, 0x1e0, v212
	v_mul_u32_u24_e32 v94, 0x1e0, v213
	;; [unrolled: 1-line block ×3, first 2 shown]
	v_lshlrev_b32_e32 v98, 4, v80
	v_lshlrev_b32_e32 v231, 4, v85
	;; [unrolled: 1-line block ×5, first 2 shown]
	v_add3_u32 v237, 0, v93, v99
	v_add3_u32 v238, 0, v94, v100
	;; [unrolled: 1-line block ×3, first 2 shown]
	v_mul_u32_u24_e32 v113, 0x1e0, v175
	v_mul_u32_u24_e32 v212, 0x1e0, v194
	;; [unrolled: 1-line block ×3, first 2 shown]
	scratch_load_b32 v91, off, off offset:28 ; 4-byte Folded Reload
	ds_load_b128 v[81:84], v255 offset:32000
	s_waitcnt vmcnt(20) lgkmcnt(0)
	v_mul_f64 v[111:112], v[83:84], v[6:7]
	v_mul_f64 v[6:7], v[81:82], v[6:7]
	s_waitcnt vmcnt(1)
	v_mul_lo_u16 v89, 0x89, v89
	s_delay_alu instid0(VALU_DEP_1) | instskip(SKIP_2) | instid1(VALU_DEP_1)
	v_lshrrev_b16 v119, 12, v89
	scratch_load_b32 v89, off, off offset:24 ; 4-byte Folded Reload
	v_mul_lo_u16 v90, v119, 30
	v_sub_nc_u16 v90, v251, v90
	s_waitcnt vmcnt(1)
	v_and_b32_e32 v91, 0xffff, v91
	s_delay_alu instid0(VALU_DEP_2) | instskip(SKIP_1) | instid1(VALU_DEP_3)
	v_and_b32_e32 v118, 0xff, v90
	v_lshlrev_b32_e32 v90, 4, v220
	v_mul_u32_u24_e32 v96, 0x1e0, v91
	s_delay_alu instid0(VALU_DEP_3)
	v_mul_u32_u24_e32 v97, 9, v118
	v_lshlrev_b32_e32 v248, 4, v118
	v_fma_f64 v[81:82], v[81:82], v[4:5], -v[111:112]
	v_fma_f64 v[83:84], v[83:84], v[4:5], v[6:7]
	v_add3_u32 v235, 0, v96, v98
	v_lshlrev_b32_e32 v80, 4, v97
	s_waitcnt vmcnt(0)
	v_and_b32_e32 v89, 0xffff, v89
	s_delay_alu instid0(VALU_DEP_1) | instskip(NEXT) | instid1(VALU_DEP_1)
	v_mul_u32_u24_e32 v89, 0x1e0, v89
	v_add3_u32 v229, 0, v89, v90
	ds_load_b128 v[89:92], v255 offset:16000
	ds_load_b128 v[85:88], v255 offset:17600
	;; [unrolled: 1-line block ×20, first 2 shown]
	ds_load_b128 v[176:179], v255
	ds_load_b128 v[180:183], v255 offset:1600
	ds_load_b128 v[184:187], v255 offset:3200
	s_waitcnt lgkmcnt(21)
	v_mul_f64 v[116:117], v[87:88], v[74:75]
	v_mul_f64 v[74:75], v[85:86], v[74:75]
	s_waitcnt lgkmcnt(19)
	v_mul_f64 v[190:191], v[99:100], v[66:67]
	v_mul_f64 v[66:67], v[97:98], v[66:67]
	;; [unrolled: 3-line block ×3, first 2 shown]
	v_mul_f64 v[109:110], v[91:92], v[2:3]
	v_mul_f64 v[2:3], v[89:90], v[2:3]
	s_waitcnt lgkmcnt(16)
	v_mul_f64 v[192:193], v[122:123], v[58:59]
	v_mul_f64 v[58:59], v[120:121], v[58:59]
	s_waitcnt lgkmcnt(15)
	;; [unrolled: 3-line block ×3, first 2 shown]
	v_mul_f64 v[196:197], v[134:135], v[10:11]
	v_mul_f64 v[10:11], v[132:133], v[10:11]
	v_mul_f64 v[198:199], v[130:131], v[14:15]
	v_mul_f64 v[14:15], v[128:129], v[14:15]
	s_waitcnt lgkmcnt(12)
	v_mul_f64 v[200:201], v[138:139], v[18:19]
	v_mul_f64 v[18:19], v[136:137], v[18:19]
	s_waitcnt lgkmcnt(11)
	v_mul_f64 v[202:203], v[142:143], v[26:27]
	v_mul_f64 v[26:27], v[140:141], v[26:27]
	;; [unrolled: 3-line block ×3, first 2 shown]
	v_mul_f64 v[206:207], v[146:147], v[30:31]
	s_waitcnt lgkmcnt(8)
	v_mul_f64 v[208:209], v[154:155], v[38:39]
	v_mul_f64 v[38:39], v[152:153], v[38:39]
	s_waitcnt lgkmcnt(7)
	v_mul_f64 v[210:211], v[158:159], v[42:43]
	;; [unrolled: 3-line block ×3, first 2 shown]
	v_mul_f64 v[214:215], v[164:165], v[54:55]
	v_mul_f64 v[217:218], v[162:163], v[50:51]
	;; [unrolled: 1-line block ×3, first 2 shown]
	v_fma_f64 v[85:86], v[85:86], v[72:73], -v[116:117]
	v_fma_f64 v[72:73], v[87:88], v[72:73], v[74:75]
	s_waitcnt lgkmcnt(4)
	v_mul_f64 v[74:75], v[170:171], v[46:47]
	v_mul_f64 v[46:47], v[168:169], v[46:47]
	;; [unrolled: 1-line block ×3, first 2 shown]
	v_fma_f64 v[70:71], v[107:108], v[68:69], v[70:71]
	v_fma_f64 v[89:90], v[89:90], v[0:1], -v[109:110]
	v_mul_f64 v[109:110], v[144:145], v[30:31]
	v_mul_f64 v[107:108], v[101:102], v[62:63]
	s_waitcnt lgkmcnt(3)
	v_mul_f64 v[116:117], v[174:175], v[78:79]
	v_mul_f64 v[78:79], v[172:173], v[78:79]
	v_fma_f64 v[91:92], v[91:92], v[0:1], v[2:3]
	v_fma_f64 v[105:106], v[105:106], v[68:69], -v[188:189]
	v_fma_f64 v[97:98], v[97:98], v[64:65], -v[190:191]
	v_fma_f64 v[99:100], v[99:100], v[64:65], v[66:67]
	v_fma_f64 v[120:121], v[120:121], v[56:57], -v[192:193]
	v_fma_f64 v[58:59], v[122:123], v[56:57], v[58:59]
	;; [unrolled: 2-line block ×9, first 2 shown]
	v_fma_f64 v[22:23], v[156:157], v[40:41], -v[210:211]
	v_fma_f64 v[38:39], v[164:165], v[52:53], -v[111:112]
	ds_load_b128 v[0:3], v255 offset:4800
	ds_load_b128 v[4:7], v255 offset:6400
	;; [unrolled: 1-line block ×6, first 2 shown]
	s_waitcnt lgkmcnt(0)
	s_barrier
	v_add_f64 v[111:112], v[180:181], v[85:86]
	buffer_gl0_inv
	v_fma_f64 v[18:19], v[146:147], v[28:29], v[109:110]
	v_fma_f64 v[28:29], v[152:153], v[36:37], -v[208:209]
	v_fma_f64 v[36:37], v[158:159], v[40:41], v[42:43]
	v_fma_f64 v[40:41], v[166:167], v[52:53], v[214:215]
	v_fma_f64 v[42:43], v[160:161], v[48:49], -v[217:218]
	v_fma_f64 v[48:49], v[162:163], v[48:49], v[50:51]
	v_fma_f64 v[50:51], v[168:169], v[44:45], -v[74:75]
	;; [unrolled: 2-line block ×4, first 2 shown]
	v_fma_f64 v[74:75], v[174:175], v[76:77], v[78:79]
	v_add_f64 v[76:77], v[89:90], v[81:82]
	v_add_f64 v[78:79], v[91:92], v[83:84]
	;; [unrolled: 1-line block ×12, first 2 shown]
	v_add_f64 v[146:147], v[34:35], -v[126:127]
	v_add_f64 v[34:35], v[8:9], v[128:129]
	v_add_f64 v[148:149], v[10:11], v[130:131]
	;; [unrolled: 1-line block ×9, first 2 shown]
	v_add_f64 v[91:92], v[91:92], -v[83:84]
	v_add_f64 v[89:90], v[89:90], -v[81:82]
	;; [unrolled: 1-line block ×4, first 2 shown]
	v_add_f64 v[172:173], v[18:19], v[26:27]
	v_add_f64 v[170:171], v[16:17], v[28:29]
	;; [unrolled: 1-line block ×4, first 2 shown]
	v_add_f64 v[202:203], v[36:37], -v[40:41]
	v_add_f64 v[208:209], v[68:69], v[48:49]
	v_add_f64 v[36:37], v[42:43], v[50:51]
	;; [unrolled: 1-line block ×4, first 2 shown]
	v_add_f64 v[214:215], v[48:49], -v[44:45]
	v_add_f64 v[217:218], v[42:43], -v[50:51]
	v_add_f64 v[42:43], v[46:47], v[60:61]
	v_add_f64 v[48:49], v[52:53], v[74:75]
	;; [unrolled: 1-line block ×4, first 2 shown]
	v_add_f64 v[223:224], v[52:53], -v[74:75]
	v_add_f64 v[225:226], v[46:47], -v[60:61]
	v_fma_f64 v[46:47], v[76:77], -0.5, v[176:177]
	v_fma_f64 v[52:53], v[78:79], -0.5, v[178:179]
	;; [unrolled: 1-line block ×4, first 2 shown]
	v_add_f64 v[134:135], v[186:187], v[99:100]
	v_add_f64 v[99:100], v[99:100], -v[58:59]
	v_add_f64 v[97:98], v[97:98], -v[120:121]
	;; [unrolled: 1-line block ×3, first 2 shown]
	v_add_f64 v[162:163], v[56:57], v[14:15]
	v_add_f64 v[166:167], v[14:15], -v[20:21]
	v_add_f64 v[8:9], v[101:102], v[81:82]
	v_add_f64 v[14:15], v[109:110], v[70:71]
	v_fma_f64 v[70:71], v[116:117], -0.5, v[184:185]
	v_fma_f64 v[81:82], v[132:133], -0.5, v[186:187]
	v_add_f64 v[122:123], v[122:123], -v[124:125]
	v_add_f64 v[154:155], v[10:11], -v[130:131]
	v_add_f64 v[10:11], v[87:88], v[83:84]
	v_fma_f64 v[83:84], v[138:139], -0.5, v[0:1]
	v_fma_f64 v[87:88], v[140:141], -0.5, v[2:3]
	v_add_f64 v[164:165], v[54:55], v[12:13]
	v_add_f64 v[188:189], v[62:63], v[16:17]
	;; [unrolled: 1-line block ×3, first 2 shown]
	v_fma_f64 v[101:102], v[34:35], -0.5, v[4:5]
	v_fma_f64 v[103:104], v[148:149], -0.5, v[6:7]
	v_add_f64 v[168:169], v[12:13], -v[24:25]
	v_add_f64 v[12:13], v[111:112], v[105:106]
	v_fma_f64 v[105:106], v[158:159], -0.5, v[54:55]
	v_fma_f64 v[107:108], v[160:161], -0.5, v[56:57]
	v_add_f64 v[174:175], v[64:65], v[18:19]
	v_add_f64 v[190:191], v[18:19], -v[26:27]
	v_add_f64 v[192:193], v[16:17], -v[28:29]
	v_fma_f64 v[109:110], v[170:171], -0.5, v[62:63]
	v_fma_f64 v[111:112], v[172:173], -0.5, v[64:65]
	v_add_f64 v[204:205], v[22:23], -v[38:39]
	v_add_f64 v[16:17], v[136:137], v[120:121]
	v_fma_f64 v[116:117], v[194:195], -0.5, v[30:31]
	v_fma_f64 v[120:121], v[196:197], -0.5, v[32:33]
	v_add_f64 v[2:3], v[142:143], v[126:127]
	v_add_f64 v[0:1], v[144:145], v[124:125]
	v_fma_f64 v[124:125], v[36:37], -0.5, v[66:67]
	v_fma_f64 v[126:127], v[206:207], -0.5, v[68:69]
	v_add_f64 v[6:7], v[150:151], v[130:131]
	;; [unrolled: 4-line block ×3, first 2 shown]
	v_fma_f64 v[40:41], v[91:92], s[0:1], v[46:47]
	v_fma_f64 v[42:43], v[89:90], s[20:21], v[52:53]
	v_add_f64 v[34:35], v[208:209], v[44:45]
	v_fma_f64 v[44:45], v[91:92], s[20:21], v[46:47]
	v_fma_f64 v[46:47], v[89:90], s[0:1], v[52:53]
	v_add_f64 v[32:33], v[210:211], v[50:51]
	v_fma_f64 v[48:49], v[72:73], s[0:1], v[76:77]
	v_fma_f64 v[50:51], v[85:86], s[20:21], v[78:79]
	;; [unrolled: 1-line block ×4, first 2 shown]
	v_add_f64 v[18:19], v[134:135], v[58:59]
	v_fma_f64 v[56:57], v[99:100], s[0:1], v[70:71]
	v_fma_f64 v[58:59], v[97:98], s[20:21], v[81:82]
	v_add_f64 v[36:37], v[221:222], v[60:61]
	v_fma_f64 v[60:61], v[99:100], s[20:21], v[70:71]
	v_fma_f64 v[62:63], v[97:98], s[0:1], v[81:82]
	;; [unrolled: 1-line block ×6, first 2 shown]
	v_add_f64 v[22:23], v[162:163], v[20:21]
	v_add_f64 v[20:21], v[164:165], v[24:25]
	;; [unrolled: 1-line block ×5, first 2 shown]
	v_fma_f64 v[72:73], v[154:155], s[0:1], v[101:102]
	v_fma_f64 v[74:75], v[156:157], s[20:21], v[103:104]
	;; [unrolled: 1-line block ×8, first 2 shown]
	v_add_f64 v[26:27], v[174:175], v[26:27]
	v_fma_f64 v[89:90], v[190:191], s[0:1], v[109:110]
	v_fma_f64 v[91:92], v[192:193], s[20:21], v[111:112]
	;; [unrolled: 1-line block ×16, first 2 shown]
	v_add3_u32 v109, 0, v113, v230
	v_add3_u32 v110, 0, v212, v231
	;; [unrolled: 1-line block ×5, first 2 shown]
	ds_store_b128 v229, v[8:11]
	ds_store_b128 v229, v[40:43] offset:160
	ds_store_b128 v229, v[44:47] offset:320
	ds_store_b128 v235, v[12:15]
	ds_store_b128 v235, v[48:51] offset:160
	ds_store_b128 v235, v[52:55] offset:320
	;; [unrolled: 3-line block ×10, first 2 shown]
	s_waitcnt lgkmcnt(0)
	s_barrier
	buffer_gl0_inv
	s_clause 0x1
	global_load_b128 v[4:7], v80, s[8:9] offset:320
	global_load_b128 v[0:3], v80, s[8:9] offset:336
	scratch_load_b32 v8, off, off offset:16 ; 4-byte Folded Reload
	s_clause 0x2
	global_load_b128 v[20:23], v80, s[8:9] offset:352
	global_load_b128 v[16:19], v80, s[8:9] offset:368
	;; [unrolled: 1-line block ×3, first 2 shown]
	v_mul_u32_u24_e32 v112, 9, v251
	s_delay_alu instid0(VALU_DEP_1) | instskip(NEXT) | instid1(VALU_DEP_1)
	v_lshlrev_b32_e32 v112, 4, v112
	v_add_co_u32 v123, s0, s8, v112
	v_and_b32_e32 v112, 0xffff, v119
	v_add_co_ci_u32_e64 v124, null, s9, 0, s0
	s_waitcnt vmcnt(3)
	v_mul_lo_u16 v8, 0x89, v8
	s_delay_alu instid0(VALU_DEP_1) | instskip(NEXT) | instid1(VALU_DEP_1)
	v_lshrrev_b16 v120, 12, v8
	v_mul_lo_u16 v8, v120, 30
	v_and_b32_e32 v241, 0xffff, v120
	s_delay_alu instid0(VALU_DEP_2)
	v_sub_nc_u16 v24, v236, v8
	global_load_b128 v[8:11], v80, s[8:9] offset:400
	scratch_load_b32 v25, off, off offset:8 ; 4-byte Folded Reload
	s_clause 0x2
	global_load_b128 v[60:63], v80, s[8:9] offset:416
	global_load_b128 v[56:59], v80, s[8:9] offset:432
	;; [unrolled: 1-line block ×3, first 2 shown]
	v_and_b32_e32 v121, 0xff, v24
	v_mul_u32_u24_e32 v247, 0x12c0, v241
	s_delay_alu instid0(VALU_DEP_2) | instskip(SKIP_1) | instid1(VALU_DEP_2)
	v_mul_u32_u24_e32 v24, 9, v121
	v_lshlrev_b32_e32 v249, 4, v121
	v_lshlrev_b32_e32 v72, 4, v24
	s_clause 0x3
	global_load_b128 v[48:51], v72, s[8:9] offset:336
	global_load_b128 v[44:47], v72, s[8:9] offset:368
	;; [unrolled: 1-line block ×4, first 2 shown]
	s_waitcnt vmcnt(7)
	v_mul_u32_u24_e32 v25, 0x8889, v25
	s_delay_alu instid0(VALU_DEP_1) | instskip(NEXT) | instid1(VALU_DEP_1)
	v_lshrrev_b32_e32 v122, 20, v25
	v_mul_lo_u16 v25, v122, 30
	s_delay_alu instid0(VALU_DEP_1) | instskip(NEXT) | instid1(VALU_DEP_1)
	v_sub_nc_u16 v24, v216, v25
	v_and_b32_e32 v113, 0xffff, v24
	s_clause 0x1
	global_load_b128 v[32:35], v72, s[8:9] offset:320
	global_load_b128 v[24:27], v72, s[8:9] offset:352
	v_mul_u32_u24_e32 v28, 9, v113
	v_lshlrev_b32_e32 v250, 4, v113
	s_delay_alu instid0(VALU_DEP_2)
	v_lshlrev_b32_e32 v92, 4, v28
	s_clause 0xb
	global_load_b128 v[28:31], v72, s[8:9] offset:384
	global_load_b128 v[64:67], v92, s[8:9] offset:336
	;; [unrolled: 1-line block ×12, first 2 shown]
	ds_load_b128 v[108:111], v255 offset:4800
	ds_load_b128 v[125:128], v255 offset:9600
	;; [unrolled: 1-line block ×26, first 2 shown]
	s_waitcnt lgkmcnt(25)
	v_mul_f64 v[116:117], v[110:111], v[6:7]
	s_waitcnt lgkmcnt(24)
	v_mul_f64 v[209:210], v[127:128], v[2:3]
	v_mul_f64 v[211:212], v[125:126], v[2:3]
	s_waitcnt lgkmcnt(23)
	v_mul_f64 v[119:120], v[131:132], v[22:23]
	;; [unrolled: 3-line block ×3, first 2 shown]
	v_mul_f64 v[18:19], v[133:134], v[18:19]
	v_mul_f64 v[6:7], v[108:109], v[6:7]
	s_waitcnt lgkmcnt(20)
	v_mul_f64 v[231:232], v[143:144], v[14:15]
	v_mul_f64 v[14:15], v[141:142], v[14:15]
	s_waitcnt vmcnt(20) lgkmcnt(16)
	v_mul_f64 v[235:236], v[159:160], v[62:63]
	v_mul_f64 v[62:63], v[157:158], v[62:63]
	s_waitcnt vmcnt(19) lgkmcnt(11)
	v_mul_f64 v[239:240], v[179:180], v[58:59]
	v_mul_f64 v[58:59], v[177:178], v[58:59]
	;; [unrolled: 1-line block ×4, first 2 shown]
	v_mul_u32_u24_e32 v2, 0x12c0, v112
	v_mul_u32_u24_e32 v3, 0x12c0, v122
	s_delay_alu instid0(VALU_DEP_2) | instskip(NEXT) | instid1(VALU_DEP_2)
	v_add3_u32 v2, 0, v2, v248
	v_add3_u32 v3, 0, v3, v250
	v_fma_f64 v[116:117], v[108:109], v[4:5], -v[116:117]
	v_fma_f64 v[125:126], v[125:126], v[0:1], -v[209:210]
	v_fma_f64 v[0:1], v[127:128], v[0:1], v[211:212]
	s_waitcnt vmcnt(18) lgkmcnt(9)
	v_mul_f64 v[127:128], v[187:188], v[54:55]
	v_mul_f64 v[54:55], v[185:186], v[54:55]
	v_fma_f64 v[119:120], v[129:130], v[20:21], -v[119:120]
	v_fma_f64 v[20:21], v[131:132], v[20:21], v[22:23]
	s_waitcnt vmcnt(17) lgkmcnt(7)
	v_mul_f64 v[22:23], v[195:196], v[50:51]
	v_mul_f64 v[50:51], v[193:194], v[50:51]
	s_waitcnt vmcnt(16) lgkmcnt(5)
	v_mul_f64 v[129:130], v[203:204], v[46:47]
	v_mul_f64 v[46:47], v[201:202], v[46:47]
	v_fma_f64 v[131:132], v[133:134], v[16:17], -v[229:230]
	v_fma_f64 v[16:17], v[135:136], v[16:17], v[18:19]
	s_waitcnt vmcnt(15) lgkmcnt(3)
	v_mul_f64 v[18:19], v[215:216], v[42:43]
	v_mul_f64 v[42:43], v[213:214], v[42:43]
	s_waitcnt vmcnt(14) lgkmcnt(1)
	v_mul_f64 v[133:134], v[223:224], v[38:39]
	v_mul_f64 v[38:39], v[221:222], v[38:39]
	v_fma_f64 v[237:238], v[110:111], v[4:5], v[6:7]
	ds_load_b128 v[4:7], v255 offset:46400
	ds_load_b128 v[108:111], v255
	v_fma_f64 v[135:136], v[141:142], v[12:13], -v[231:232]
	v_fma_f64 v[141:142], v[143:144], v[12:13], v[14:15]
	v_fma_f64 v[157:158], v[157:158], v[60:61], -v[235:236]
	v_fma_f64 v[60:61], v[159:160], v[60:61], v[62:63]
	;; [unrolled: 2-line block ×4, first 2 shown]
	ds_load_b128 v[8:11], v255 offset:1600
	ds_load_b128 v[12:15], v255 offset:3200
	s_waitcnt vmcnt(0) lgkmcnt(0)
	s_barrier
	buffer_gl0_inv
	v_fma_f64 v[127:128], v[185:186], v[52:53], -v[127:128]
	v_fma_f64 v[52:53], v[187:188], v[52:53], v[54:55]
	v_fma_f64 v[22:23], v[193:194], v[48:49], -v[22:23]
	v_fma_f64 v[48:49], v[195:196], v[48:49], v[50:51]
	v_fma_f64 v[129:130], v[201:202], v[44:45], -v[129:130]
	v_fma_f64 v[44:45], v[203:204], v[44:45], v[46:47]
	v_fma_f64 v[18:19], v[213:214], v[40:41], -v[18:19]
	v_fma_f64 v[40:41], v[215:216], v[40:41], v[42:43]
	v_fma_f64 v[42:43], v[221:222], v[36:37], -v[133:134]
	v_fma_f64 v[36:37], v[223:224], v[36:37], v[38:39]
	v_add_f64 v[193:194], v[135:136], -v[119:120]
	v_add_f64 v[195:196], v[119:120], v[127:128]
	v_add_f64 v[201:202], v[20:21], v[52:53]
	v_add_f64 v[203:204], v[60:61], -v[52:53]
	v_add_f64 v[223:224], v[129:130], -v[22:23]
	v_add_f64 v[112:113], v[129:130], v[18:19]
	v_add_f64 v[133:134], v[44:45], v[40:41]
	;; [unrolled: 1-line block ×3, first 2 shown]
	v_fma_f64 v[201:202], v[201:202], -0.5, v[237:238]
	s_delay_alu instid0(VALU_DEP_4)
	v_fma_f64 v[112:113], v[112:113], -0.5, v[8:9]
	v_mul_f64 v[143:144], v[139:140], v[34:35]
	v_mul_f64 v[34:35], v[137:138], v[34:35]
	v_mul_f64 v[209:210], v[155:156], v[26:27]
	v_mul_f64 v[26:27], v[153:154], v[26:27]
	v_mul_f64 v[211:212], v[167:168], v[30:31]
	v_mul_f64 v[30:31], v[165:166], v[30:31]
	v_mul_f64 v[229:230], v[199:200], v[66:67]
	v_mul_f64 v[66:67], v[197:198], v[66:67]
	v_mul_f64 v[62:63], v[207:208], v[70:71]
	v_mul_f64 v[70:71], v[205:206], v[70:71]
	v_mul_f64 v[159:160], v[219:220], v[90:91]
	v_mul_f64 v[231:232], v[227:228], v[106:107]
	v_mul_f64 v[58:59], v[217:218], v[90:91]
	v_mul_f64 v[90:91], v[225:226], v[106:107]
	v_mul_f64 v[106:107], v[175:176], v[102:103]
	v_mul_f64 v[54:55], v[191:192], v[98:99]
	v_mul_f64 v[102:103], v[173:174], v[102:103]
	v_mul_f64 v[98:99], v[189:190], v[98:99]
	v_mul_f64 v[179:180], v[147:148], v[86:87]
	v_mul_f64 v[86:87], v[145:146], v[86:87]
	v_mul_f64 v[50:51], v[163:164], v[82:83]
	v_mul_f64 v[82:83], v[161:162], v[82:83]
	v_mul_f64 v[185:186], v[171:172], v[78:79]
	v_mul_f64 v[187:188], v[6:7], v[94:95]
	v_mul_f64 v[78:79], v[169:170], v[78:79]
	v_mul_f64 v[46:47], v[183:184], v[74:75]
	v_mul_f64 v[74:75], v[181:182], v[74:75]
	v_mul_f64 v[94:95], v[4:5], v[94:95]
	v_fma_f64 v[38:39], v[197:198], v[64:65], -v[229:230]
	v_fma_f64 v[64:65], v[199:200], v[64:65], v[66:67]
	v_fma_f64 v[62:63], v[205:206], v[68:69], -v[62:63]
	v_fma_f64 v[66:67], v[207:208], v[68:69], v[70:71]
	v_fma_f64 v[68:69], v[217:218], v[88:89], -v[159:160]
	v_fma_f64 v[70:71], v[225:226], v[104:105], -v[231:232]
	v_fma_f64 v[58:59], v[219:220], v[88:89], v[58:59]
	v_fma_f64 v[88:89], v[227:228], v[104:105], v[90:91]
	v_fma_f64 v[90:91], v[137:138], v[32:33], -v[143:144]
	v_fma_f64 v[32:33], v[139:140], v[32:33], v[34:35]
	v_fma_f64 v[34:35], v[153:154], v[24:25], -v[209:210]
	;; [unrolled: 2-line block ×4, first 2 shown]
	v_fma_f64 v[54:55], v[189:190], v[96:97], -v[54:55]
	v_fma_f64 v[100:101], v[175:176], v[100:101], v[102:103]
	v_fma_f64 v[96:97], v[191:192], v[96:97], v[98:99]
	v_fma_f64 v[98:99], v[145:146], v[84:85], -v[179:180]
	v_fma_f64 v[84:85], v[147:148], v[84:85], v[86:87]
	v_fma_f64 v[50:51], v[161:162], v[80:81], -v[50:51]
	;; [unrolled: 2-line block ×3, first 2 shown]
	v_fma_f64 v[4:5], v[4:5], v[92:93], -v[187:188]
	v_add_f64 v[185:186], v[131:132], -v[125:126]
	v_add_f64 v[187:188], v[149:150], -v[177:178]
	v_add_f64 v[205:206], v[22:23], -v[129:130]
	v_add_f64 v[207:208], v[42:43], -v[18:19]
	v_add_f64 v[209:210], v[48:49], -v[44:45]
	v_add_f64 v[211:212], v[36:37], -v[40:41]
	v_add_f64 v[189:190], v[16:17], -v[0:1]
	v_add_f64 v[191:192], v[151:152], -v[56:57]
	v_fma_f64 v[76:77], v[171:172], v[76:77], v[78:79]
	v_fma_f64 v[46:47], v[181:182], v[72:73], -v[46:47]
	v_fma_f64 v[72:73], v[183:184], v[72:73], v[74:75]
	v_add_f64 v[74:75], v[131:132], v[149:150]
	v_add_f64 v[78:79], v[125:126], v[177:178]
	v_fma_f64 v[6:7], v[6:7], v[92:93], v[94:95]
	v_add_f64 v[86:87], v[16:17], v[151:152]
	v_add_f64 v[92:93], v[0:1], v[56:57]
	;; [unrolled: 1-line block ×3, first 2 shown]
	v_add_f64 v[163:164], v[125:126], -v[131:132]
	v_add_f64 v[145:146], v[62:63], v[68:69]
	v_add_f64 v[147:148], v[38:39], v[70:71]
	;; [unrolled: 1-line block ×4, first 2 shown]
	v_add_f64 v[165:166], v[177:178], -v[149:150]
	v_add_f64 v[167:168], v[0:1], -v[16:17]
	;; [unrolled: 1-line block ×6, first 2 shown]
	v_add_f64 v[94:95], v[108:109], v[125:126]
	v_add_f64 v[233:234], v[30:31], -v[54:55]
	v_add_f64 v[175:176], v[20:21], -v[141:142]
	;; [unrolled: 1-line block ×5, first 2 shown]
	v_add_f64 v[104:105], v[116:117], v[119:120]
	v_add_f64 v[106:107], v[237:238], v[20:21]
	;; [unrolled: 1-line block ×5, first 2 shown]
	v_add_f64 v[213:214], v[34:35], -v[26:27]
	v_add_f64 v[215:216], v[54:55], -v[30:31]
	;; [unrolled: 1-line block ×4, first 2 shown]
	v_add_f64 v[185:186], v[185:186], v[187:188]
	v_add_f64 v[187:188], v[90:91], v[34:35]
	;; [unrolled: 1-line block ×8, first 2 shown]
	v_add_f64 v[225:226], v[18:19], -v[42:43]
	v_add_f64 v[159:160], v[12:13], v[38:39]
	v_add_f64 v[189:190], v[189:190], v[191:192]
	;; [unrolled: 1-line block ×5, first 2 shown]
	v_fma_f64 v[74:75], v[74:75], -0.5, v[108:109]
	v_fma_f64 v[78:79], v[78:79], -0.5, v[108:109]
	v_add_f64 v[108:109], v[34:35], v[54:55]
	v_fma_f64 v[86:87], v[86:87], -0.5, v[110:111]
	v_fma_f64 v[92:93], v[92:93], -0.5, v[110:111]
	v_add_f64 v[110:111], v[24:25], v[96:97]
	v_add_f64 v[139:140], v[8:9], v[22:23]
	v_add_f64 v[197:198], v[157:158], -v[127:128]
	v_add_f64 v[199:200], v[141:142], -v[20:21]
	;; [unrolled: 1-line block ×4, first 2 shown]
	v_fma_f64 v[8:9], v[121:122], -0.5, v[8:9]
	v_fma_f64 v[121:122], v[133:134], -0.5, v[10:11]
	v_fma_f64 v[10:11], v[137:138], -0.5, v[10:11]
	v_add_f64 v[133:134], v[64:65], -v[66:67]
	v_add_f64 v[137:138], v[88:89], -v[58:59]
	v_fma_f64 v[145:146], v[145:146], -0.5, v[12:13]
	v_fma_f64 v[12:13], v[147:148], -0.5, v[12:13]
	;; [unrolled: 1-line block ×4, first 2 shown]
	v_add_f64 v[153:154], v[50:51], -v[82:83]
	v_add_f64 v[155:156], v[4:5], -v[46:47]
	v_add_f64 v[163:164], v[163:164], v[165:166]
	v_add_f64 v[165:166], v[80:81], -v[76:77]
	v_add_f64 v[167:168], v[167:168], v[169:170]
	;; [unrolled: 2-line block ×3, first 2 shown]
	v_add_f64 v[173:174], v[76:77], v[72:73]
	v_add_f64 v[231:232], v[231:232], v[233:234]
	;; [unrolled: 1-line block ×6, first 2 shown]
	v_add_f64 v[229:230], v[131:132], -v[149:150]
	v_add_f64 v[94:95], v[94:95], v[131:132]
	v_add_f64 v[131:132], v[50:51], v[4:5]
	v_fma_f64 v[183:184], v[183:184], -0.5, v[237:238]
	v_fma_f64 v[181:182], v[181:182], -0.5, v[116:117]
	v_add_f64 v[213:214], v[213:214], v[215:216]
	v_add_f64 v[215:216], v[135:136], -v[157:158]
	v_add_f64 v[217:218], v[217:218], v[219:220]
	v_add_f64 v[219:220], v[141:142], -v[60:61]
	;; [unrolled: 2-line block ×4, first 2 shown]
	v_add_f64 v[118:119], v[119:120], -v[127:128]
	v_add_f64 v[20:21], v[20:21], -v[52:53]
	v_add_f64 v[187:188], v[187:188], v[26:27]
	v_add_f64 v[161:162], v[161:162], v[66:67]
	;; [unrolled: 1-line block ×4, first 2 shown]
	v_fma_f64 v[116:117], v[195:196], -0.5, v[116:117]
	v_add_f64 v[223:224], v[223:224], v[225:226]
	v_add_f64 v[225:226], v[16:17], -v[151:152]
	v_add_f64 v[16:17], v[102:103], v[16:17]
	v_add_f64 v[143:144], v[143:144], v[44:45]
	;; [unrolled: 1-line block ×4, first 2 shown]
	v_add_f64 v[34:35], v[34:35], -v[54:55]
	v_add_f64 v[24:25], v[24:25], -v[96:97]
	v_fma_f64 v[221:222], v[221:222], -0.5, v[90:91]
	v_fma_f64 v[90:91], v[108:109], -0.5, v[90:91]
	v_fma_f64 v[108:109], v[245:246], -0.5, v[32:33]
	v_add_f64 v[237:238], v[62:63], -v[38:39]
	v_add_f64 v[195:196], v[68:69], -v[70:71]
	;; [unrolled: 1-line block ×4, first 2 shown]
	v_fma_f64 v[32:33], v[110:111], -0.5, v[32:33]
	v_add_f64 v[125:126], v[125:126], -v[177:178]
	v_add_f64 v[139:140], v[139:140], v[129:130]
	v_add_f64 v[129:130], v[129:130], -v[18:19]
	v_add_f64 v[193:194], v[193:194], v[197:198]
	v_add_f64 v[197:198], v[66:67], -v[64:65]
	v_add_f64 v[199:200], v[199:200], v[203:204]
	v_add_f64 v[203:204], v[58:59], -v[88:89]
	v_add_f64 v[235:236], v[235:236], v[239:240]
	v_add_f64 v[239:240], v[82:83], -v[50:51]
	v_add_f64 v[48:49], v[48:49], -v[36:37]
	;; [unrolled: 1-line block ×4, first 2 shown]
	v_add_f64 v[110:111], v[133:134], v[137:138]
	v_add_f64 v[133:134], v[153:154], v[155:156]
	;; [unrolled: 1-line block ×3, first 2 shown]
	v_fma_f64 v[153:154], v[173:174], -0.5, v[84:85]
	v_fma_f64 v[169:170], v[233:234], -0.5, v[98:99]
	v_add_f64 v[102:103], v[46:47], -v[4:5]
	v_add_f64 v[22:23], v[22:23], -v[42:43]
	;; [unrolled: 1-line block ×4, first 2 shown]
	v_fma_f64 v[84:85], v[179:180], -0.5, v[84:85]
	v_fma_f64 v[98:99], v[131:132], -0.5, v[98:99]
	v_add_f64 v[66:67], v[66:67], -v[58:59]
	v_add_f64 v[131:132], v[135:136], v[141:142]
	v_add_f64 v[60:61], v[106:107], v[60:61]
	;; [unrolled: 1-line block ×6, first 2 shown]
	v_fma_f64 v[106:107], v[118:119], s[14:15], v[183:184]
	v_fma_f64 v[135:136], v[20:21], s[10:11], v[181:182]
	v_add_f64 v[0:1], v[0:1], -v[56:57]
	v_add_f64 v[44:45], v[44:45], -v[40:41]
	v_add_f64 v[94:95], v[94:95], v[149:150]
	v_add_f64 v[16:17], v[16:17], v[151:152]
	;; [unrolled: 1-line block ×3, first 2 shown]
	v_fma_f64 v[143:144], v[215:216], s[10:11], v[201:202]
	v_fma_f64 v[149:150], v[219:220], s[14:15], v[116:117]
	;; [unrolled: 1-line block ×4, first 2 shown]
	v_add_f64 v[241:242], v[38:39], -v[62:63]
	v_add_f64 v[243:244], v[70:71], -v[68:69]
	;; [unrolled: 1-line block ×3, first 2 shown]
	v_add_f64 v[100:101], v[191:192], v[100:101]
	v_add_f64 v[68:69], v[159:160], v[68:69]
	v_fma_f64 v[116:117], v[219:220], s[10:11], v[116:117]
	v_fma_f64 v[159:160], v[215:216], s[14:15], v[201:202]
	v_add_f64 v[104:105], v[104:105], v[157:158]
	v_fma_f64 v[161:162], v[20:21], s[14:15], v[181:182]
	v_fma_f64 v[173:174], v[118:119], s[10:11], v[183:184]
	;; [unrolled: 1-line block ×4, first 2 shown]
	v_add_f64 v[155:156], v[237:238], v[195:196]
	v_fma_f64 v[191:192], v[26:27], s[10:11], v[32:33]
	v_fma_f64 v[195:196], v[28:29], s[14:15], v[90:91]
	v_add_f64 v[18:19], v[139:140], v[18:19]
	v_fma_f64 v[141:142], v[125:126], s[14:15], v[86:87]
	v_fma_f64 v[201:202], v[129:130], s[10:11], v[10:11]
	;; [unrolled: 1-line block ×5, first 2 shown]
	v_add_f64 v[165:166], v[197:198], v[203:204]
	v_fma_f64 v[203:204], v[24:25], s[14:15], v[221:222]
	v_fma_f64 v[108:109], v[34:35], s[10:11], v[108:109]
	;; [unrolled: 1-line block ×6, first 2 shown]
	v_add_f64 v[102:103], v[239:240], v[102:103]
	v_fma_f64 v[157:158], v[229:230], s[10:11], v[92:93]
	v_fma_f64 v[92:93], v[229:230], s[14:15], v[92:93]
	;; [unrolled: 1-line block ×10, first 2 shown]
	v_add_f64 v[30:31], v[30:31], v[54:55]
	v_add_f64 v[54:55], v[58:59], v[88:89]
	;; [unrolled: 1-line block ×4, first 2 shown]
	v_fma_f64 v[4:5], v[215:216], s[12:13], v[106:107]
	v_fma_f64 v[6:7], v[219:220], s[4:5], v[135:136]
	;; [unrolled: 1-line block ×4, first 2 shown]
	v_add_f64 v[52:53], v[60:61], v[52:53]
	v_fma_f64 v[60:61], v[0:1], s[4:5], v[151:152]
	v_fma_f64 v[0:1], v[0:1], s[12:13], v[78:79]
	;; [unrolled: 1-line block ×4, first 2 shown]
	v_add_f64 v[36:37], v[40:41], v[36:37]
	v_add_f64 v[40:41], v[100:101], v[96:97]
	v_fma_f64 v[20:21], v[20:21], s[12:13], v[116:117]
	v_fma_f64 v[96:97], v[118:119], s[4:5], v[159:160]
	v_add_f64 v[16:17], v[16:17], v[56:57]
	v_add_f64 v[56:57], v[104:105], v[127:128]
	v_fma_f64 v[100:101], v[219:220], s[12:13], v[161:162]
	v_fma_f64 v[104:105], v[215:216], s[4:5], v[173:174]
	v_add_f64 v[64:65], v[64:65], -v[88:89]
	v_fma_f64 v[106:107], v[26:27], s[12:13], v[179:180]
	v_fma_f64 v[116:117], v[28:29], s[4:5], v[181:182]
	;; [unrolled: 1-line block ×4, first 2 shown]
	v_add_f64 v[94:95], v[94:95], v[177:178]
	v_fma_f64 v[127:128], v[34:35], s[12:13], v[191:192]
	v_fma_f64 v[135:136], v[24:25], s[4:5], v[195:196]
	v_add_f64 v[38:39], v[38:39], -v[70:71]
	v_add_f64 v[18:19], v[18:19], v[42:43]
	v_add_f64 v[42:43], v[68:69], v[70:71]
	v_fma_f64 v[70:71], v[229:230], s[12:13], v[141:142]
	v_fma_f64 v[141:142], v[22:23], s[12:13], v[201:202]
	;; [unrolled: 1-line block ×5, first 2 shown]
	v_add_f64 v[241:242], v[241:242], v[243:244]
	v_fma_f64 v[243:244], v[66:67], s[14:15], v[12:13]
	v_fma_f64 v[12:13], v[66:67], s[10:11], v[12:13]
	;; [unrolled: 1-line block ×36, first 2 shown]
	v_add_f64 v[4:5], v[94:95], v[56:57]
	v_add_f64 v[6:7], v[16:17], v[52:53]
	v_add_f64 v[8:9], v[94:95], -v[56:57]
	v_add_f64 v[10:11], v[16:17], -v[52:53]
	v_fma_f64 v[52:53], v[235:236], s[16:17], v[127:128]
	v_fma_f64 v[56:57], v[231:232], s[16:17], v[135:136]
	;; [unrolled: 1-line block ×8, first 2 shown]
	v_add_f64 v[12:13], v[18:19], v[30:31]
	v_add_f64 v[16:17], v[18:19], -v[30:31]
	v_fma_f64 v[28:29], v[213:214], s[16:17], v[28:29]
	v_fma_f64 v[30:31], v[217:218], s[16:17], v[26:27]
	;; [unrolled: 1-line block ×6, first 2 shown]
	v_add_f64 v[14:15], v[36:37], v[40:41]
	v_add_f64 v[18:19], v[36:37], -v[40:41]
	v_fma_f64 v[36:37], v[137:138], s[16:17], v[44:45]
	v_fma_f64 v[40:41], v[133:134], s[16:17], v[90:91]
	v_fma_f64 v[44:45], v[131:132], s[16:17], v[120:121]
	v_fma_f64 v[90:91], v[102:103], s[16:17], v[129:130]
	v_fma_f64 v[80:81], v[102:103], s[16:17], v[80:81]
	v_fma_f64 v[50:51], v[131:132], s[16:17], v[50:51]
	v_fma_f64 v[76:77], v[133:134], s[16:17], v[76:77]
	v_fma_f64 v[82:83], v[137:138], s[16:17], v[82:83]
	v_mul_f64 v[102:103], v[84:85], s[4:5]
	v_mul_f64 v[120:121], v[98:99], s[12:13]
	;; [unrolled: 1-line block ×4, first 2 shown]
	v_add_f64 v[20:21], v[42:43], v[46:47]
	v_add_f64 v[24:25], v[42:43], -v[46:47]
	v_mul_f64 v[42:43], v[153:154], s[16:17]
	v_mul_f64 v[46:47], v[96:97], s[16:17]
	v_add_f64 v[22:23], v[54:55], v[58:59]
	v_add_f64 v[26:27], v[54:55], -v[58:59]
	v_fma_f64 v[54:55], v[163:164], s[16:17], v[68:69]
	v_fma_f64 v[58:59], v[167:168], s[16:17], v[70:71]
	v_mul_f64 v[68:69], v[100:101], s[18:19]
	v_mul_f64 v[70:71], v[104:105], s[18:19]
	v_fma_f64 v[108:109], v[66:67], s[4:5], v[221:222]
	v_mul_f64 v[133:134], v[106:107], s[4:5]
	v_mul_f64 v[135:136], v[116:117], s[12:13]
	v_fma_f64 v[66:67], v[66:67], s[12:13], v[145:146]
	v_mul_f64 v[137:138], v[52:53], s[10:11]
	v_mul_f64 v[145:146], v[56:57], s[14:15]
	v_fma_f64 v[112:113], v[62:63], s[12:13], v[233:234]
	v_fma_f64 v[62:63], v[62:63], s[4:5], v[147:148]
	v_mul_f64 v[147:148], v[94:95], s[16:17]
	v_mul_f64 v[157:158], v[127:128], s[16:17]
	;; [unrolled: 1-line block ×4, first 2 shown]
	v_fma_f64 v[74:75], v[163:164], s[16:17], v[74:75]
	v_fma_f64 v[86:87], v[167:168], s[16:17], v[86:87]
	;; [unrolled: 1-line block ×4, first 2 shown]
	v_mul_f64 v[163:164], v[36:37], s[4:5]
	v_mul_f64 v[167:168], v[40:41], s[12:13]
	;; [unrolled: 1-line block ×8, first 2 shown]
	v_fma_f64 v[98:99], v[98:99], s[18:19], v[102:103]
	v_fma_f64 v[84:85], v[84:85], s[18:19], v[120:121]
	;; [unrolled: 1-line block ×7, first 2 shown]
	v_fma_f64 v[48:49], v[96:97], s[10:11], -v[42:43]
	v_fma_f64 v[96:97], v[153:154], s[14:15], -v[46:47]
	v_fma_f64 v[118:119], v[205:206], s[16:17], v[118:119]
	v_fma_f64 v[125:126], v[209:210], s[16:17], v[125:126]
	v_fma_f64 v[102:103], v[223:224], s[16:17], v[139:140]
	v_fma_f64 v[68:69], v[104:105], s[4:5], -v[68:69]
	v_fma_f64 v[70:71], v[100:101], s[12:13], -v[70:71]
	v_fma_f64 v[100:101], v[241:242], s[16:17], v[108:109]
	v_fma_f64 v[108:109], v[116:117], s[18:19], v[133:134]
	;; [unrolled: 1-line block ×8, first 2 shown]
	v_fma_f64 v[127:128], v[127:128], s[10:11], -v[147:148]
	v_fma_f64 v[94:95], v[94:95], s[14:15], -v[157:158]
	v_fma_f64 v[141:142], v[209:210], s[16:17], v[34:35]
	v_fma_f64 v[104:105], v[110:111], s[16:17], v[112:113]
	;; [unrolled: 1-line block ×4, first 2 shown]
	v_fma_f64 v[110:111], v[30:31], s[4:5], -v[159:160]
	v_fma_f64 v[149:150], v[28:29], s[12:13], -v[161:162]
	v_fma_f64 v[116:117], v[165:166], s[16:17], v[151:152]
	v_fma_f64 v[151:152], v[40:41], s[18:19], v[163:164]
	;; [unrolled: 1-line block ×7, first 2 shown]
	v_fma_f64 v[159:160], v[50:51], s[10:11], -v[173:174]
	v_fma_f64 v[161:162], v[80:81], s[14:15], -v[175:176]
	v_fma_f64 v[145:146], v[241:242], s[16:17], v[66:67]
	v_fma_f64 v[163:164], v[82:83], s[4:5], -v[177:178]
	v_fma_f64 v[165:166], v[76:77], s[12:13], -v[179:180]
	v_add_f64 v[28:29], v[54:55], v[98:99]
	v_add_f64 v[30:31], v[58:59], v[84:85]
	;; [unrolled: 1-line block ×6, first 2 shown]
	v_add_f64 v[32:33], v[54:55], -v[98:99]
	v_add_f64 v[34:35], v[58:59], -v[84:85]
	v_add_f64 v[52:53], v[74:75], v[68:69]
	v_add_f64 v[54:55], v[86:87], v[70:71]
	v_add_f64 v[40:41], v[60:61], -v[78:79]
	v_add_f64 v[42:43], v[88:89], -v[72:73]
	;; [unrolled: 1-line block ×6, first 2 shown]
	v_add_f64 v[60:61], v[118:119], v[108:109]
	v_add_f64 v[62:63], v[125:126], v[106:107]
	;; [unrolled: 1-line block ×6, first 2 shown]
	v_add_f64 v[64:65], v[118:119], -v[108:109]
	v_add_f64 v[66:67], v[125:126], -v[106:107]
	v_add_f64 v[84:85], v[139:140], v[110:111]
	v_add_f64 v[86:87], v[141:142], v[149:150]
	v_add_f64 v[72:73], v[102:103], -v[133:134]
	v_add_f64 v[74:75], v[120:121], -v[135:136]
	;; [unrolled: 1-line block ×6, first 2 shown]
	v_add_f64 v[92:93], v[100:101], v[151:152]
	v_add_f64 v[94:95], v[104:105], v[153:154]
	v_add_f64 v[96:97], v[100:101], -v[151:152]
	v_add_f64 v[100:101], v[112:113], v[155:156]
	v_add_f64 v[102:103], v[116:117], v[157:158]
	;; [unrolled: 1-line block ×6, first 2 shown]
	v_add_f64 v[98:99], v[104:105], -v[153:154]
	v_add_f64 v[104:105], v[112:113], -v[155:156]
	;; [unrolled: 1-line block ×7, first 2 shown]
	v_add_co_u32 v0, s0, 0x1000, v123
	s_delay_alu instid0(VALU_DEP_1)
	v_add_co_ci_u32_e64 v1, s0, 0, v124, s0
	v_add3_u32 v112, 0, v247, v249
	ds_store_b128 v2, v[4:7]
	ds_store_b128 v2, v[28:31] offset:480
	ds_store_b128 v2, v[36:39] offset:960
	ds_store_b128 v2, v[44:47] offset:1440
	ds_store_b128 v2, v[8:11] offset:2400
	ds_store_b128 v2, v[52:55] offset:1920
	ds_store_b128 v2, v[32:35] offset:2880
	ds_store_b128 v2, v[40:43] offset:3360
	ds_store_b128 v2, v[48:51] offset:3840
	ds_store_b128 v2, v[56:59] offset:4320
	ds_store_b128 v112, v[12:15]
	ds_store_b128 v112, v[60:63] offset:480
	ds_store_b128 v112, v[68:71] offset:960
	ds_store_b128 v112, v[76:79] offset:1440
	ds_store_b128 v112, v[84:87] offset:1920
	ds_store_b128 v112, v[16:19] offset:2400
	ds_store_b128 v112, v[64:67] offset:2880
	ds_store_b128 v112, v[72:75] offset:3360
	ds_store_b128 v112, v[80:83] offset:3840
	ds_store_b128 v112, v[88:91] offset:4320
	ds_store_b128 v3, v[20:23]
	ds_store_b128 v3, v[92:95] offset:480
	ds_store_b128 v3, v[100:103] offset:960
	ds_store_b128 v3, v[108:111] offset:1440
	ds_store_b128 v3, v[118:121] offset:1920
	ds_store_b128 v3, v[24:27] offset:2400
	ds_store_b128 v3, v[96:99] offset:2880
	ds_store_b128 v3, v[104:107] offset:3360
	ds_store_b128 v3, v[125:128] offset:3840
	ds_store_b128 v3, v[129:132] offset:4320
	v_add_co_u32 v2, s0, 0x1220, v123
	s_delay_alu instid0(VALU_DEP_1)
	v_add_co_ci_u32_e64 v3, s0, 0, v124, s0
	s_waitcnt lgkmcnt(0)
	s_barrier
	buffer_gl0_inv
	s_clause 0x4
	global_load_b128 v[4:7], v[0:1], off offset:544
	global_load_b128 v[16:19], v[2:3], off offset:16
	;; [unrolled: 1-line block ×5, first 2 shown]
	v_add_co_u32 v2, s0, 0x1260, v123
	s_delay_alu instid0(VALU_DEP_1) | instskip(SKIP_1) | instid1(VALU_DEP_1)
	v_add_co_ci_u32_e64 v3, s0, 0, v124, s0
	v_add_co_u32 v48, s0, 0x4a60, v123
	v_add_co_ci_u32_e64 v49, s0, 0, v124, s0
	s_clause 0x2
	global_load_b128 v[24:27], v[2:3], off offset:16
	global_load_b128 v[44:47], v[2:3], off offset:32
	global_load_b128 v[40:43], v[2:3], off offset:48
	v_add_co_u32 v2, s0, 0x4aa0, v123
	s_delay_alu instid0(VALU_DEP_1)
	v_add_co_ci_u32_e64 v3, s0, 0, v124, s0
	v_add_co_u32 v56, s0, 0x4000, v123
	s_clause 0x4
	global_load_b128 v[66:69], v[48:49], off offset:16
	global_load_b128 v[70:73], v[48:49], off offset:48
	;; [unrolled: 1-line block ×5, first 2 shown]
	v_add_co_ci_u32_e64 v57, s0, 0, v124, s0
	v_add_co_u32 v0, s0, 0x82a0, v123
	s_delay_alu instid0(VALU_DEP_1) | instskip(SKIP_1) | instid1(VALU_DEP_1)
	v_add_co_ci_u32_e64 v1, s0, 0, v124, s0
	v_add_co_u32 v58, s0, 0x82e0, v123
	v_add_co_ci_u32_e64 v59, s0, 0, v124, s0
	s_clause 0x7
	global_load_b128 v[32:35], v[56:57], off offset:2656
	global_load_b128 v[52:55], v[0:1], off offset:16
	;; [unrolled: 1-line block ×8, first 2 shown]
	v_add_co_u32 v2, s0, 0x8000, v123
	s_delay_alu instid0(VALU_DEP_1)
	v_add_co_ci_u32_e64 v3, s0, 0, v124, s0
	s_clause 0x5
	global_load_b128 v[104:107], v[56:57], off offset:2784
	global_load_b128 v[108:111], v[2:3], off offset:672
	;; [unrolled: 1-line block ×6, first 2 shown]
	ds_load_b128 v[56:59], v255 offset:4800
	ds_load_b128 v[62:65], v255 offset:9600
	ds_load_b128 v[118:121], v255 offset:14400
	ds_load_b128 v[122:125], v255 offset:19200
	ds_load_b128 v[142:145], v255 offset:6400
	ds_load_b128 v[146:149], v255 offset:24000
	ds_load_b128 v[150:153], v255 offset:28800
	ds_load_b128 v[154:157], v255 offset:8000
	ds_load_b128 v[158:161], v255 offset:16000
	ds_load_b128 v[162:165], v255 offset:17600
	ds_load_b128 v[166:169], v255 offset:25600
	ds_load_b128 v[170:173], v255 offset:33600
	ds_load_b128 v[174:177], v255 offset:35200
	ds_load_b128 v[178:181], v255 offset:27200
	ds_load_b128 v[182:185], v255 offset:38400
	ds_load_b128 v[186:189], v255 offset:36800
	ds_load_b128 v[190:193], v255 offset:43200
	ds_load_b128 v[194:197], v255 offset:44800
	ds_load_b128 v[198:201], v255 offset:11200
	ds_load_b128 v[202:205], v255 offset:12800
	ds_load_b128 v[206:209], v255 offset:20800
	ds_load_b128 v[213:216], v255 offset:22400
	ds_load_b128 v[217:220], v255 offset:30400
	ds_load_b128 v[221:224], v255 offset:32000
	ds_load_b128 v[225:228], v255 offset:40000
	ds_load_b128 v[229:232], v255 offset:41600
	ds_load_b128 v[233:236], v255 offset:46400
	ds_load_b128 v[0:3], v255
	s_waitcnt vmcnt(25) lgkmcnt(26)
	v_mul_f64 v[78:79], v[64:65], v[18:19]
	v_mul_f64 v[18:19], v[62:63], v[18:19]
	;; [unrolled: 1-line block ×4, first 2 shown]
	s_waitcnt vmcnt(24) lgkmcnt(25)
	v_mul_f64 v[88:89], v[120:121], v[14:15]
	v_mul_f64 v[14:15], v[118:119], v[14:15]
	s_waitcnt vmcnt(23) lgkmcnt(24)
	v_mul_f64 v[98:99], v[124:125], v[10:11]
	v_mul_f64 v[10:11], v[122:123], v[10:11]
	;; [unrolled: 3-line block ×7, first 2 shown]
	s_waitcnt vmcnt(15)
	v_mul_f64 v[245:246], v[190:191], v[30:31]
	s_waitcnt vmcnt(9)
	v_mul_f64 v[249:250], v[215:216], v[86:87]
	v_mul_f64 v[86:87], v[213:214], v[86:87]
	;; [unrolled: 1-line block ×3, first 2 shown]
	v_fma_f64 v[26:27], v[62:63], v[16:17], -v[78:79]
	v_mul_f64 v[78:79], v[208:209], v[72:73]
	v_fma_f64 v[60:61], v[56:57], v[4:5], -v[60:61]
	v_fma_f64 v[56:57], v[58:59], v[4:5], v[6:7]
	v_mul_f64 v[4:5], v[184:185], v[42:43]
	v_mul_f64 v[6:7], v[182:183], v[42:43]
	v_fma_f64 v[42:43], v[64:65], v[16:17], v[18:19]
	v_mul_f64 v[72:73], v[206:207], v[72:73]
	v_fma_f64 v[64:65], v[118:119], v[12:13], -v[88:89]
	v_fma_f64 v[62:63], v[120:121], v[12:13], v[14:15]
	v_mul_f64 v[118:119], v[192:193], v[30:31]
	s_waitcnt lgkmcnt(3)
	v_mul_f64 v[88:89], v[227:228], v[38:39]
	v_mul_f64 v[120:121], v[225:226], v[38:39]
	v_fma_f64 v[38:39], v[122:123], v[8:9], -v[98:99]
	v_fma_f64 v[46:47], v[124:125], v[8:9], v[10:11]
	v_mul_f64 v[98:99], v[204:205], v[54:55]
	v_mul_f64 v[124:125], v[202:203], v[54:55]
	v_fma_f64 v[16:17], v[150:151], v[24:25], -v[116:117]
	v_fma_f64 v[18:19], v[152:153], v[24:25], v[210:211]
	s_waitcnt vmcnt(8)
	v_mul_f64 v[116:117], v[223:224], v[92:93]
	s_waitcnt vmcnt(7) lgkmcnt(2)
	v_mul_f64 v[150:151], v[231:232], v[96:97]
	v_mul_f64 v[152:153], v[221:222], v[92:93]
	v_fma_f64 v[58:59], v[146:147], v[20:21], -v[112:113]
	v_fma_f64 v[54:55], v[148:149], v[20:21], v[22:23]
	v_fma_f64 v[20:21], v[170:171], v[44:45], -v[237:238]
	v_mul_f64 v[170:171], v[229:230], v[96:97]
	v_mul_f64 v[122:123], v[144:145], v[34:35]
	;; [unrolled: 1-line block ×5, first 2 shown]
	v_fma_f64 v[22:23], v[172:173], v[44:45], v[239:240]
	v_mul_f64 v[82:83], v[166:167], v[82:83]
	s_waitcnt vmcnt(6)
	v_mul_f64 v[172:173], v[176:177], v[102:103]
	v_mul_f64 v[210:211], v[174:175], v[102:103]
	s_waitcnt vmcnt(4)
	v_mul_f64 v[237:238], v[154:155], v[110:111]
	v_fma_f64 v[34:35], v[198:199], v[66:67], -v[241:242]
	s_waitcnt vmcnt(3)
	v_mul_f64 v[198:199], v[164:165], v[128:129]
	v_mul_f64 v[128:129], v[162:163], v[128:129]
	v_fma_f64 v[24:25], v[217:218], v[74:75], -v[243:244]
	v_fma_f64 v[44:45], v[206:207], v[70:71], -v[78:79]
	v_fma_f64 v[30:31], v[219:220], v[74:75], v[76:77]
	s_waitcnt vmcnt(0) lgkmcnt(1)
	v_mul_f64 v[206:207], v[235:236], v[140:141]
	v_fma_f64 v[12:13], v[182:183], v[40:41], -v[4:5]
	v_fma_f64 v[14:15], v[184:185], v[40:41], v[6:7]
	v_mul_f64 v[182:183], v[196:197], v[106:107]
	v_mul_f64 v[106:107], v[194:195], v[106:107]
	;; [unrolled: 1-line block ×3, first 2 shown]
	v_fma_f64 v[40:41], v[200:201], v[66:67], v[68:69]
	v_fma_f64 v[50:51], v[208:209], v[70:71], v[72:73]
	v_mul_f64 v[72:73], v[188:189], v[136:137]
	v_mul_f64 v[136:137], v[186:187], v[136:137]
	v_fma_f64 v[66:67], v[225:226], v[36:37], -v[88:89]
	v_fma_f64 v[36:37], v[227:228], v[36:37], v[120:121]
	v_fma_f64 v[70:71], v[190:191], v[28:29], -v[118:119]
	v_fma_f64 v[28:29], v[192:193], v[28:29], v[245:246]
	v_mul_f64 v[200:201], v[180:181], v[132:133]
	v_mul_f64 v[132:133], v[178:179], v[132:133]
	;; [unrolled: 1-line block ×3, first 2 shown]
	v_fma_f64 v[88:89], v[202:203], v[52:53], -v[98:99]
	v_fma_f64 v[96:97], v[204:205], v[52:53], v[124:125]
	v_fma_f64 v[92:93], v[213:214], v[84:85], -v[249:250]
	v_fma_f64 v[98:99], v[215:216], v[84:85], v[86:87]
	v_fma_f64 v[76:77], v[221:222], v[90:91], -v[116:117]
	v_fma_f64 v[52:53], v[229:230], v[94:95], -v[150:151]
	v_fma_f64 v[78:79], v[223:224], v[90:91], v[152:153]
	v_fma_f64 v[68:69], v[231:232], v[94:95], v[170:171]
	v_fma_f64 v[94:95], v[142:143], v[32:33], -v[122:123]
	v_fma_f64 v[102:103], v[144:145], v[32:33], v[247:248]
	v_fma_f64 v[122:123], v[158:159], v[48:49], -v[112:113]
	;; [unrolled: 2-line block ×4, first 2 shown]
	v_fma_f64 v[82:83], v[176:177], v[100:101], v[210:211]
	v_fma_f64 v[100:101], v[156:157], v[108:109], v[237:238]
	v_fma_f64 v[120:121], v[162:163], v[126:127], -v[198:199]
	v_add_f64 v[160:161], v[26:27], -v[38:39]
	v_add_f64 v[168:169], v[64:65], -v[58:59]
	;; [unrolled: 1-line block ×3, first 2 shown]
	v_add_f64 v[142:143], v[46:47], v[18:19]
	v_add_f64 v[162:163], v[12:13], -v[16:17]
	v_add_f64 v[166:167], v[14:15], -v[18:19]
	v_fma_f64 v[32:33], v[194:195], v[104:105], -v[182:183]
	v_fma_f64 v[48:49], v[196:197], v[104:105], v[106:107]
	v_fma_f64 v[90:91], v[154:155], v[108:109], -v[184:185]
	v_fma_f64 v[104:105], v[164:165], v[126:127], v[128:129]
	v_add_f64 v[148:149], v[50:51], v[30:31]
	v_add_f64 v[164:165], v[42:43], -v[46:47]
	v_fma_f64 v[86:87], v[188:189], v[134:135], v[136:137]
	v_add_f64 v[136:137], v[44:45], v[24:25]
	v_add_f64 v[146:147], v[34:35], v[66:67]
	;; [unrolled: 1-line block ×3, first 2 shown]
	v_add_f64 v[170:171], v[70:71], -v[20:21]
	v_add_f64 v[174:175], v[28:29], -v[22:23]
	v_fma_f64 v[108:109], v[178:179], v[130:131], -v[200:201]
	v_fma_f64 v[106:107], v[180:181], v[130:131], v[132:133]
	v_fma_f64 v[84:85], v[186:187], v[134:135], -v[72:73]
	v_fma_f64 v[72:73], v[233:234], v[138:139], -v[206:207]
	v_fma_f64 v[74:75], v[235:236], v[138:139], v[140:141]
	v_add_f64 v[138:139], v[38:39], v[16:17]
	v_add_f64 v[140:141], v[26:27], v[12:13]
	;; [unrolled: 1-line block ×6, first 2 shown]
	v_add_f64 v[184:185], v[46:47], -v[42:43]
	v_add_f64 v[186:187], v[18:19], -v[14:15]
	v_add_f64 v[158:159], v[96:97], v[68:69]
	v_add_f64 v[204:205], v[40:41], -v[50:51]
	v_add_f64 v[206:207], v[36:37], -v[30:31]
	ds_load_b128 v[8:11], v255 offset:1600
	ds_load_b128 v[4:7], v255 offset:3200
	s_waitcnt lgkmcnt(2)
	v_add_f64 v[126:127], v[0:1], v[26:27]
	v_add_f64 v[128:129], v[2:3], v[42:43]
	v_add_f64 v[130:131], v[60:61], v[64:65]
	v_add_f64 v[176:177], v[58:59], v[20:21]
	v_add_f64 v[178:179], v[54:55], v[22:23]
	v_add_f64 v[180:181], v[38:39], -v[26:27]
	v_add_f64 v[182:183], v[16:17], -v[12:13]
	v_add_f64 v[160:161], v[160:161], v[162:163]
	v_add_f64 v[162:163], v[94:95], v[122:123]
	;; [unrolled: 1-line block ×6, first 2 shown]
	v_add_f64 v[188:189], v[58:59], -v[64:65]
	v_add_f64 v[164:165], v[164:165], v[166:167]
	v_add_f64 v[166:167], v[102:103], v[110:111]
	v_add_f64 v[192:193], v[20:21], -v[70:71]
	v_add_f64 v[208:209], v[122:123], -v[124:125]
	s_waitcnt lgkmcnt(1)
	v_add_f64 v[132:133], v[8:9], v[34:35]
	v_add_f64 v[134:135], v[10:11], v[40:41]
	s_waitcnt lgkmcnt(0)
	v_add_f64 v[152:153], v[4:5], v[88:89]
	v_fma_f64 v[136:137], v[136:137], -0.5, v[8:9]
	v_fma_f64 v[8:9], v[146:147], -0.5, v[8:9]
	;; [unrolled: 1-line block ×4, first 2 shown]
	v_add_f64 v[150:151], v[56:57], v[62:63]
	v_add_f64 v[168:169], v[168:169], v[170:171]
	;; [unrolled: 1-line block ×6, first 2 shown]
	v_add_f64 v[210:211], v[32:33], -v[80:81]
	v_add_f64 v[230:231], v[122:123], v[32:33]
	v_add_f64 v[234:235], v[110:111], v[48:49]
	v_add_f64 v[212:213], v[110:111], -v[118:119]
	v_add_f64 v[214:215], v[48:49], -v[82:83]
	v_fma_f64 v[138:139], v[138:139], -0.5, v[0:1]
	v_fma_f64 v[0:1], v[140:141], -0.5, v[0:1]
	;; [unrolled: 1-line block ×4, first 2 shown]
	v_add_f64 v[144:145], v[104:105], -v[106:107]
	v_add_f64 v[148:149], v[74:75], -v[86:87]
	v_fma_f64 v[112:113], v[112:113], -0.5, v[4:5]
	v_fma_f64 v[4:5], v[116:117], -0.5, v[4:5]
	;; [unrolled: 1-line block ×3, first 2 shown]
	v_add_f64 v[156:157], v[106:107], v[86:87]
	v_add_f64 v[184:185], v[184:185], v[186:187]
	;; [unrolled: 1-line block ×3, first 2 shown]
	v_fma_f64 v[6:7], v[158:159], -0.5, v[6:7]
	v_add_f64 v[158:159], v[104:105], v[74:75]
	v_add_f64 v[204:205], v[204:205], v[206:207]
	;; [unrolled: 1-line block ×3, first 2 shown]
	v_add_f64 v[194:195], v[54:55], -v[62:63]
	v_add_f64 v[64:65], v[64:65], -v[70:71]
	v_add_f64 v[180:181], v[180:181], v[182:183]
	v_add_f64 v[182:183], v[58:59], -v[20:21]
	v_add_f64 v[62:63], v[62:63], -v[28:29]
	v_fma_f64 v[176:177], v[176:177], -0.5, v[60:61]
	v_fma_f64 v[178:179], v[178:179], -0.5, v[56:57]
	v_add_f64 v[58:59], v[130:131], v[58:59]
	v_add_f64 v[128:129], v[128:129], v[46:47]
	;; [unrolled: 1-line block ×11, first 2 shown]
	v_add_f64 v[228:229], v[124:125], -v[122:123]
	v_add_f64 v[236:237], v[118:119], -v[110:111]
	v_fma_f64 v[60:61], v[190:191], -0.5, v[60:61]
	v_add_f64 v[54:55], v[54:55], -v[22:23]
	v_add_f64 v[46:47], v[46:47], -v[18:19]
	;; [unrolled: 1-line block ×4, first 2 shown]
	v_fma_f64 v[218:219], v[218:219], -0.5, v[102:103]
	v_fma_f64 v[216:217], v[216:217], -0.5, v[94:95]
	v_add_f64 v[198:199], v[22:23], -v[28:29]
	v_add_f64 v[200:201], v[34:35], -v[44:45]
	;; [unrolled: 1-line block ×3, first 2 shown]
	v_fma_f64 v[56:57], v[196:197], -0.5, v[56:57]
	v_add_f64 v[38:39], v[38:39], -v[16:17]
	v_add_f64 v[154:155], v[154:155], v[98:99]
	v_add_f64 v[190:191], v[92:93], -v[88:89]
	v_add_f64 v[188:189], v[188:189], v[192:193]
	v_add_f64 v[192:193], v[76:77], -v[52:53]
	v_add_f64 v[196:197], v[108:109], -v[120:121]
	v_add_f64 v[208:209], v[208:209], v[210:211]
	v_add_f64 v[210:211], v[84:85], -v[72:73]
	v_add_f64 v[124:125], v[124:125], -v[80:81]
	;; [unrolled: 1-line block ×3, first 2 shown]
	v_fma_f64 v[102:103], v[234:235], -0.5, v[102:103]
	v_fma_f64 v[94:95], v[230:231], -0.5, v[94:95]
	v_add_f64 v[248:249], v[120:121], -v[108:109]
	v_add_f64 v[212:213], v[212:213], v[214:215]
	v_add_f64 v[214:215], v[106:107], -v[104:105]
	v_add_f64 v[130:131], v[86:87], -v[74:75]
	;; [unrolled: 1-line block ×4, first 2 shown]
	v_add_f64 v[144:145], v[144:145], v[148:149]
	v_fma_f64 v[148:149], v[156:157], -0.5, v[100:101]
	v_fma_f64 v[156:157], v[186:187], -0.5, v[90:91]
	v_add_f64 v[220:221], v[44:45], -v[34:35]
	v_add_f64 v[222:223], v[24:25], -v[66:67]
	;; [unrolled: 1-line block ×8, first 2 shown]
	v_fma_f64 v[100:101], v[158:159], -0.5, v[100:101]
	v_fma_f64 v[90:91], v[206:207], -0.5, v[90:91]
	v_add_f64 v[232:233], v[80:81], -v[32:33]
	v_add_f64 v[240:241], v[88:89], -v[92:93]
	;; [unrolled: 1-line block ×7, first 2 shown]
	v_add_f64 v[16:17], v[126:127], v[16:17]
	v_add_f64 v[18:19], v[128:129], v[18:19]
	;; [unrolled: 1-line block ×11, first 2 shown]
	v_fma_f64 v[86:87], v[64:65], s[14:15], v[178:179]
	v_fma_f64 v[126:127], v[62:63], s[10:11], v[176:177]
	v_add_f64 v[42:43], v[42:43], -v[14:15]
	v_fma_f64 v[150:151], v[54:55], s[14:15], v[60:61]
	v_fma_f64 v[152:153], v[46:47], s[14:15], v[0:1]
	;; [unrolled: 1-line block ×7, first 2 shown]
	v_add_f64 v[244:245], v[96:97], -v[98:99]
	v_add_f64 v[246:247], v[68:69], -v[78:79]
	v_add_f64 v[194:195], v[194:195], v[198:199]
	v_add_f64 v[198:199], v[98:99], -v[96:97]
	v_add_f64 v[200:201], v[200:201], v[202:203]
	v_add_f64 v[202:203], v[78:79], -v[68:69]
	v_add_f64 v[40:41], v[40:41], -v[36:37]
	;; [unrolled: 1-line block ×3, first 2 shown]
	v_add_f64 v[78:79], v[154:155], v[78:79]
	v_fma_f64 v[134:135], v[182:183], s[10:11], v[56:57]
	v_fma_f64 v[154:155], v[38:39], s[10:11], v[2:3]
	;; [unrolled: 1-line block ×4, first 2 shown]
	v_add_f64 v[158:159], v[190:191], v[192:193]
	v_add_f64 v[190:191], v[196:197], v[210:211]
	v_fma_f64 v[192:193], v[124:125], s[10:11], v[102:103]
	v_fma_f64 v[196:197], v[118:119], s[14:15], v[94:95]
	;; [unrolled: 1-line block ×5, first 2 shown]
	v_add_f64 v[96:97], v[96:97], -v[68:69]
	v_fma_f64 v[206:207], v[110:111], s[14:15], v[216:217]
	v_fma_f64 v[210:211], v[122:123], s[10:11], v[218:219]
	v_add_f64 v[130:131], v[214:215], v[130:131]
	v_fma_f64 v[214:215], v[120:121], s[14:15], v[148:149]
	v_fma_f64 v[216:217], v[104:105], s[10:11], v[156:157]
	v_add_f64 v[88:89], v[88:89], -v[52:53]
	v_add_f64 v[220:221], v[220:221], v[222:223]
	v_add_f64 v[222:223], v[224:225], v[226:227]
	;; [unrolled: 1-line block ×3, first 2 shown]
	v_fma_f64 v[132:133], v[26:27], s[14:15], v[140:141]
	v_fma_f64 v[234:235], v[108:109], s[10:11], v[100:101]
	;; [unrolled: 1-line block ×7, first 2 shown]
	v_add_f64 v[12:13], v[16:17], v[12:13]
	v_add_f64 v[14:15], v[18:19], v[14:15]
	;; [unrolled: 1-line block ×8, first 2 shown]
	v_fma_f64 v[52:53], v[182:183], s[12:13], v[86:87]
	v_fma_f64 v[58:59], v[54:55], s[4:5], v[126:127]
	v_add_f64 v[34:35], v[34:35], -v[66:67]
	v_fma_f64 v[128:129], v[42:43], s[10:11], v[138:139]
	v_fma_f64 v[138:139], v[42:43], s[14:15], v[138:139]
	v_add_f64 v[28:29], v[80:81], v[48:49]
	v_add_f64 v[36:37], v[82:83], v[72:73]
	;; [unrolled: 1-line block ×3, first 2 shown]
	v_fma_f64 v[72:73], v[62:63], s[4:5], v[150:151]
	v_fma_f64 v[74:75], v[42:43], s[4:5], v[152:153]
	v_fma_f64 v[42:43], v[42:43], s[12:13], v[0:1]
	v_fma_f64 v[0:1], v[62:63], s[12:13], v[60:61]
	v_fma_f64 v[54:55], v[54:55], s[12:13], v[162:163]
	v_fma_f64 v[60:61], v[124:125], s[12:13], v[170:171]
	v_fma_f64 v[62:63], v[118:119], s[4:5], v[174:175]
	v_fma_f64 v[140:141], v[26:27], s[10:11], v[140:141]
	v_fma_f64 v[176:177], v[40:41], s[10:11], v[136:137]
	v_fma_f64 v[136:137], v[40:41], s[14:15], v[136:137]
	v_fma_f64 v[70:71], v[64:65], s[12:13], v[134:135]
	v_fma_f64 v[76:77], v[26:27], s[12:13], v[154:155]
	v_fma_f64 v[26:27], v[26:27], s[4:5], v[2:3]
	v_fma_f64 v[2:3], v[64:65], s[4:5], v[56:57]
	v_add_f64 v[224:225], v[228:229], v[232:233]
	v_fma_f64 v[94:95], v[110:111], s[12:13], v[94:95]
	v_fma_f64 v[102:103], v[122:123], s[4:5], v[102:103]
	;; [unrolled: 1-line block ×9, first 2 shown]
	v_add_f64 v[228:229], v[240:241], v[242:243]
	v_add_f64 v[142:143], v[248:249], v[142:143]
	;; [unrolled: 1-line block ×3, first 2 shown]
	v_fma_f64 v[198:199], v[50:51], s[14:15], v[8:9]
	v_fma_f64 v[202:203], v[44:45], s[10:11], v[10:11]
	;; [unrolled: 1-line block ×12, first 2 shown]
	v_add_f64 v[32:33], v[78:79], v[68:69]
	v_fma_f64 v[68:69], v[38:39], s[12:13], v[132:133]
	v_fma_f64 v[132:133], v[120:121], s[12:13], v[234:235]
	v_fma_f64 v[134:135], v[104:105], s[4:5], v[236:237]
	v_fma_f64 v[90:91], v[104:105], s[12:13], v[90:91]
	v_fma_f64 v[100:101], v[120:121], s[4:5], v[100:101]
	v_fma_f64 v[104:105], v[106:107], s[12:13], v[156:157]
	v_fma_f64 v[106:107], v[108:109], s[4:5], v[148:149]
	v_fma_f64 v[52:53], v[172:173], s[16:17], v[52:53]
	v_fma_f64 v[58:59], v[168:169], s[16:17], v[58:59]
	v_fma_f64 v[178:179], v[34:35], s[14:15], v[146:147]
	v_fma_f64 v[66:67], v[46:47], s[4:5], v[128:129]
	v_fma_f64 v[54:55], v[168:169], s[16:17], v[54:55]
	v_fma_f64 v[60:61], v[212:213], s[16:17], v[60:61]
	v_fma_f64 v[62:63], v[208:209], s[16:17], v[62:63]
	v_fma_f64 v[46:47], v[46:47], s[12:13], v[138:139]
	v_fma_f64 v[64:65], v[50:51], s[4:5], v[176:177]
	v_fma_f64 v[50:51], v[50:51], s[12:13], v[136:137]
	v_fma_f64 v[70:71], v[194:195], s[16:17], v[70:71]
	v_fma_f64 v[72:73], v[188:189], s[16:17], v[72:73]
	v_fma_f64 v[136:137], v[188:189], s[16:17], v[0:1]
	v_fma_f64 v[138:139], v[194:195], s[16:17], v[2:3]
	v_fma_f64 v[146:147], v[34:35], s[10:11], v[146:147]
	v_fma_f64 v[38:39], v[38:39], s[4:5], v[140:141]
	v_fma_f64 v[94:95], v[224:225], s[16:17], v[94:95]
	v_fma_f64 v[102:103], v[226:227], s[16:17], v[102:103]
	v_fma_f64 v[56:57], v[172:173], s[16:17], v[56:57]
	v_fma_f64 v[80:81], v[226:227], s[16:17], v[80:81]
	v_fma_f64 v[82:83], v[224:225], s[16:17], v[82:83]
	v_fma_f64 v[126:127], v[98:99], s[4:5], v[218:219]
	v_fma_f64 v[98:99], v[98:99], s[12:13], v[112:113]
	v_fma_f64 v[110:111], v[208:209], s[16:17], v[110:111]
	v_fma_f64 v[112:113], v[212:213], s[16:17], v[118:119]
	v_fma_f64 v[84:85], v[40:41], s[4:5], v[198:199]
	v_fma_f64 v[86:87], v[34:35], s[12:13], v[202:203]
	v_fma_f64 v[40:41], v[40:41], s[12:13], v[8:9]
	v_fma_f64 v[34:35], v[34:35], s[4:5], v[10:11]
	v_fma_f64 v[108:109], v[96:97], s[4:5], v[238:239]
	v_fma_f64 v[120:121], v[88:89], s[12:13], v[240:241]
	v_fma_f64 v[96:97], v[96:97], s[12:13], v[4:5]
	v_fma_f64 v[88:89], v[88:89], s[4:5], v[6:7]
	v_add_f64 v[0:1], v[12:13], v[16:17]
	v_add_f64 v[2:3], v[14:15], v[18:19]
	v_add_f64 v[4:5], v[12:13], -v[16:17]
	v_add_f64 v[6:7], v[14:15], -v[18:19]
	v_add_f64 v[8:9], v[20:21], v[24:25]
	v_add_f64 v[10:11], v[22:23], v[28:29]
	v_add_f64 v[12:13], v[20:21], -v[24:25]
	v_add_f64 v[14:15], v[22:23], -v[28:29]
	v_fma_f64 v[24:25], v[144:145], s[16:17], v[122:123]
	v_fma_f64 v[28:29], v[142:143], s[16:17], v[124:125]
	;; [unrolled: 1-line block ×10, first 2 shown]
	v_mul_f64 v[122:123], v[52:53], s[4:5]
	v_mul_f64 v[124:125], v[58:59], s[12:13]
	v_fma_f64 v[78:79], v[44:45], s[12:13], v[178:179]
	v_add_f64 v[16:17], v[30:31], v[36:37]
	v_add_f64 v[20:21], v[30:31], -v[36:37]
	v_fma_f64 v[36:37], v[160:161], s[16:17], v[66:67]
	v_mul_f64 v[66:67], v[54:55], s[18:19]
	v_mul_f64 v[134:135], v[60:61], s[4:5]
	;; [unrolled: 1-line block ×3, first 2 shown]
	v_add_f64 v[18:19], v[32:33], v[48:49]
	v_mul_f64 v[130:131], v[70:71], s[10:11]
	v_mul_f64 v[132:133], v[72:73], s[14:15]
	v_add_f64 v[22:23], v[32:33], -v[48:49]
	v_mul_f64 v[30:31], v[136:137], s[16:17]
	v_mul_f64 v[32:33], v[138:139], s[16:17]
	v_fma_f64 v[44:45], v[44:45], s[4:5], v[146:147]
	v_fma_f64 v[146:147], v[160:161], s[16:17], v[46:47]
	;; [unrolled: 1-line block ×3, first 2 shown]
	v_mul_f64 v[38:39], v[94:95], s[16:17]
	v_mul_f64 v[46:47], v[102:103], s[16:17]
	v_fma_f64 v[48:49], v[164:165], s[16:17], v[68:69]
	v_mul_f64 v[68:69], v[56:57], s[18:19]
	v_fma_f64 v[142:143], v[180:181], s[16:17], v[42:43]
	v_fma_f64 v[144:145], v[184:185], s[16:17], v[26:27]
	v_mul_f64 v[26:27], v[80:81], s[10:11]
	v_mul_f64 v[42:43], v[82:83], s[14:15]
	v_mul_f64 v[150:151], v[110:111], s[18:19]
	v_mul_f64 v[152:153], v[112:113], s[18:19]
	v_add_f64 v[230:231], v[244:245], v[246:247]
	v_mul_f64 v[154:155], v[24:25], s[4:5]
	v_mul_f64 v[156:157], v[28:29], s[12:13]
	v_fma_f64 v[64:65], v[200:201], s[16:17], v[64:65]
	v_mul_f64 v[160:161], v[116:117], s[10:11]
	v_mul_f64 v[162:163], v[118:119], s[14:15]
	;; [unrolled: 1-line block ×6, first 2 shown]
	v_fma_f64 v[58:59], v[58:59], s[18:19], v[122:123]
	v_fma_f64 v[52:53], v[52:53], s[18:19], v[124:125]
	;; [unrolled: 1-line block ×6, first 2 shown]
	v_fma_f64 v[56:57], v[56:57], s[4:5], -v[66:67]
	v_fma_f64 v[62:63], v[62:63], s[18:19], v[134:135]
	v_fma_f64 v[66:67], v[60:61], s[18:19], v[140:141]
	;; [unrolled: 1-line block ×6, first 2 shown]
	v_fma_f64 v[130:131], v[138:139], s[10:11], -v[30:31]
	v_fma_f64 v[132:133], v[136:137], s[14:15], -v[32:33]
	v_fma_f64 v[76:77], v[184:185], s[16:17], v[76:77]
	v_fma_f64 v[84:85], v[220:221], s[16:17], v[84:85]
	;; [unrolled: 1-line block ×3, first 2 shown]
	v_fma_f64 v[102:103], v[102:103], s[10:11], -v[38:39]
	v_fma_f64 v[158:159], v[94:95], s[14:15], -v[46:47]
	v_fma_f64 v[136:137], v[200:201], s[16:17], v[50:51]
	v_fma_f64 v[54:55], v[54:55], s[12:13], -v[68:69]
	v_fma_f64 v[138:139], v[204:205], s[16:17], v[44:45]
	v_fma_f64 v[140:141], v[186:187], s[16:17], v[88:89]
	;; [unrolled: 1-line block ×4, first 2 shown]
	v_fma_f64 v[82:83], v[112:113], s[4:5], -v[150:151]
	v_fma_f64 v[88:89], v[110:111], s[12:13], -v[152:153]
	v_fma_f64 v[126:127], v[228:229], s[16:17], v[126:127]
	v_fma_f64 v[128:129], v[230:231], s[16:17], v[128:129]
	;; [unrolled: 1-line block ×7, first 2 shown]
	v_fma_f64 v[154:155], v[100:101], s[10:11], -v[164:165]
	v_fma_f64 v[156:157], v[90:91], s[14:15], -v[166:167]
	v_fma_f64 v[112:113], v[228:229], s[16:17], v[98:99]
	v_fma_f64 v[150:151], v[230:231], s[16:17], v[92:93]
	v_fma_f64 v[160:161], v[106:107], s[4:5], -v[168:169]
	v_fma_f64 v[162:163], v[104:105], s[12:13], -v[170:171]
	v_add_f64 v[24:25], v[36:37], v[58:59]
	v_add_f64 v[26:27], v[48:49], v[52:53]
	v_add_f64 v[28:29], v[36:37], -v[58:59]
	v_add_f64 v[30:31], v[48:49], -v[52:53]
	v_add_f64 v[48:49], v[146:147], v[56:57]
	v_add_f64 v[52:53], v[146:147], -v[56:57]
	v_add_f64 v[56:57], v[64:65], v[62:63]
	v_add_f64 v[58:59], v[78:79], v[66:67]
	;; [unrolled: 1-line block ×3, first 2 shown]
	v_add_f64 v[36:37], v[74:75], -v[72:73]
	v_add_f64 v[40:41], v[142:143], v[130:131]
	v_add_f64 v[42:43], v[144:145], v[132:133]
	v_add_f64 v[38:39], v[76:77], -v[70:71]
	v_add_f64 v[34:35], v[76:77], v[70:71]
	v_add_f64 v[60:61], v[64:65], -v[62:63]
	v_add_f64 v[72:73], v[122:123], v[102:103]
	v_add_f64 v[74:75], v[124:125], v[158:159]
	v_add_f64 v[62:63], v[78:79], -v[66:67]
	v_add_f64 v[50:51], v[148:149], v[54:55]
	v_add_f64 v[54:55], v[148:149], -v[54:55]
	v_add_f64 v[44:45], v[142:143], -v[130:131]
	v_add_f64 v[64:65], v[84:85], v[68:69]
	v_add_f64 v[68:69], v[84:85], -v[68:69]
	v_add_f64 v[70:71], v[86:87], -v[80:81]
	v_add_f64 v[66:67], v[86:87], v[80:81]
	v_add_f64 v[76:77], v[136:137], v[82:83]
	v_add_f64 v[80:81], v[136:137], -v[82:83]
	v_add_f64 v[82:83], v[138:139], -v[88:89]
	v_add_f64 v[84:85], v[126:127], v[110:111]
	v_add_f64 v[86:87], v[128:129], v[152:153]
	;; [unrolled: 1-line block ×7, first 2 shown]
	v_add_f64 v[104:105], v[126:127], -v[110:111]
	v_add_f64 v[96:97], v[112:113], v[160:161]
	v_add_f64 v[98:99], v[150:151], v[162:163]
	v_add_f64 v[106:107], v[128:129], -v[152:153]
	v_add_f64 v[46:47], v[144:145], -v[132:133]
	v_add_f64 v[108:109], v[108:109], -v[118:119]
	v_add_f64 v[110:111], v[120:121], -v[116:117]
	v_add_f64 v[100:101], v[122:123], -v[102:103]
	v_add_f64 v[102:103], v[124:125], -v[158:159]
	v_add_f64 v[118:119], v[134:135], -v[154:155]
	v_add_f64 v[120:121], v[140:141], -v[156:157]
	v_add_f64 v[122:123], v[112:113], -v[160:161]
	v_add_f64 v[124:125], v[150:151], -v[162:163]
	s_barrier
	buffer_gl0_inv
	ds_store_b128 v255, v[4:7] offset:24000
	ds_store_b128 v255, v[12:15] offset:25600
	;; [unrolled: 1-line block ×28, first 2 shown]
	ds_store_b128 v255, v[0:3]
	ds_store_b128 v255, v[122:125] offset:46400
	s_waitcnt lgkmcnt(0)
	s_barrier
	buffer_gl0_inv
	s_and_saveexec_b32 s0, vcc_lo
	s_cbranch_execz .LBB0_21
; %bb.20:
	scratch_load_b64 v[4:5], off, off       ; 8-byte Folded Reload
	v_mov_b32_e32 v252, 0
	v_add_nc_u32_e32 v6, 0x64, v251
	v_lshl_add_u32 v40, v251, 4, 0
	v_add_nc_u32_e32 v10, 0xc8, v251
	s_delay_alu instid0(VALU_DEP_4)
	v_dual_mov_b32 v17, v252 :: v_dual_add_nc_u32 v16, 0x12c, v251
	v_mov_b32_e32 v7, v252
	v_lshlrev_b64 v[12:13], 4, v[251:252]
	v_dual_mov_b32 v11, v252 :: v_dual_add_nc_u32 v20, 0x190, v251
	v_mov_b32_e32 v21, v252
	v_lshlrev_b64 v[16:17], 4, v[16:17]
	v_dual_mov_b32 v39, v252 :: v_dual_add_nc_u32 v38, 0x1f4, v251
	s_delay_alu instid0(VALU_DEP_4) | instskip(NEXT) | instid1(VALU_DEP_4)
	v_lshlrev_b64 v[18:19], 4, v[10:11]
	v_lshlrev_b64 v[36:37], 4, v[20:21]
	s_waitcnt vmcnt(0)
	v_mul_lo_u32 v2, s3, v4
	v_mul_lo_u32 v3, s2, v5
	v_mad_u64_u32 v[0:1], null, s2, v4, 0
	v_lshlrev_b64 v[4:5], 4, v[114:115]
	s_delay_alu instid0(VALU_DEP_2) | instskip(NEXT) | instid1(VALU_DEP_1)
	v_add3_u32 v1, v1, v3, v2
	v_lshlrev_b64 v[8:9], 4, v[0:1]
	ds_load_b128 v[0:3], v40
	v_add_co_u32 v8, vcc_lo, s6, v8
	v_add_co_ci_u32_e32 v9, vcc_lo, s7, v9, vcc_lo
	s_delay_alu instid0(VALU_DEP_2) | instskip(NEXT) | instid1(VALU_DEP_2)
	v_add_co_u32 v41, vcc_lo, v8, v4
	v_add_co_ci_u32_e32 v42, vcc_lo, v9, v5, vcc_lo
	v_lshlrev_b64 v[4:5], 4, v[6:7]
	s_delay_alu instid0(VALU_DEP_3) | instskip(NEXT) | instid1(VALU_DEP_3)
	v_add_co_u32 v28, vcc_lo, v41, v12
	v_add_co_ci_u32_e32 v29, vcc_lo, v42, v13, vcc_lo
	s_delay_alu instid0(VALU_DEP_3) | instskip(NEXT) | instid1(VALU_DEP_4)
	v_add_co_u32 v30, vcc_lo, v41, v4
	v_add_co_ci_u32_e32 v31, vcc_lo, v42, v5, vcc_lo
	ds_load_b128 v[4:7], v40 offset:1600
	ds_load_b128 v[8:11], v40 offset:3200
	;; [unrolled: 1-line block ×3, first 2 shown]
	v_add_co_u32 v32, vcc_lo, v41, v18
	v_add_co_ci_u32_e32 v33, vcc_lo, v42, v19, vcc_lo
	v_add_co_u32 v34, vcc_lo, v41, v16
	v_add_co_ci_u32_e32 v35, vcc_lo, v42, v17, vcc_lo
	ds_load_b128 v[16:19], v40 offset:6400
	ds_load_b128 v[20:23], v40 offset:8000
	;; [unrolled: 1-line block ×3, first 2 shown]
	s_waitcnt lgkmcnt(6)
	global_store_b128 v[28:29], v[0:3], off
	s_waitcnt lgkmcnt(5)
	global_store_b128 v[30:31], v[4:7], off
	;; [unrolled: 2-line block ×4, first 2 shown]
	v_lshlrev_b64 v[0:1], 4, v[38:39]
	v_add_co_u32 v4, vcc_lo, v41, v36
	v_dual_mov_b32 v3, v252 :: v_dual_add_nc_u32 v2, 0x258, v251
	v_add_co_ci_u32_e32 v5, vcc_lo, v42, v37, vcc_lo
	s_delay_alu instid0(VALU_DEP_4)
	v_add_co_u32 v6, vcc_lo, v41, v0
	v_dual_mov_b32 v9, v252 :: v_dual_add_nc_u32 v8, 0x2bc, v251
	v_add_co_ci_u32_e32 v7, vcc_lo, v42, v1, vcc_lo
	v_lshlrev_b64 v[10:11], 4, v[2:3]
	ds_load_b128 v[0:3], v40 offset:9600
	s_waitcnt lgkmcnt(3)
	global_store_b128 v[4:5], v[16:19], off
	s_waitcnt lgkmcnt(2)
	global_store_b128 v[6:7], v[20:23], off
	v_lshlrev_b64 v[4:5], 4, v[8:9]
	v_dual_mov_b32 v7, v252 :: v_dual_add_nc_u32 v6, 0x320, v251
	v_add_co_u32 v28, vcc_lo, v41, v10
	v_add_co_ci_u32_e32 v29, vcc_lo, v42, v11, vcc_lo
	s_delay_alu instid0(VALU_DEP_4)
	v_add_co_u32 v30, vcc_lo, v41, v4
	v_dual_mov_b32 v17, v252 :: v_dual_add_nc_u32 v16, 0x384, v251
	v_add_co_ci_u32_e32 v31, vcc_lo, v42, v5, vcc_lo
	v_lshlrev_b64 v[18:19], 4, v[6:7]
	ds_load_b128 v[4:7], v40 offset:11200
	ds_load_b128 v[8:11], v40 offset:12800
	;; [unrolled: 1-line block ×3, first 2 shown]
	v_lshlrev_b64 v[16:17], 4, v[16:17]
	v_dual_mov_b32 v21, v252 :: v_dual_add_nc_u32 v20, 0x3e8, v251
	v_add_nc_u32_e32 v38, 0x44c, v251
	v_add_co_u32 v32, vcc_lo, v41, v18
	v_add_co_ci_u32_e32 v33, vcc_lo, v42, v19, vcc_lo
	v_add_co_u32 v34, vcc_lo, v41, v16
	v_add_co_ci_u32_e32 v35, vcc_lo, v42, v17, vcc_lo
	ds_load_b128 v[16:19], v40 offset:16000
	v_lshlrev_b64 v[36:37], 4, v[20:21]
	ds_load_b128 v[20:23], v40 offset:17600
	s_waitcnt lgkmcnt(5)
	global_store_b128 v[28:29], v[0:3], off
	s_waitcnt lgkmcnt(4)
	global_store_b128 v[30:31], v[4:7], off
	s_waitcnt lgkmcnt(3)
	global_store_b128 v[32:33], v[8:11], off
	s_waitcnt lgkmcnt(2)
	global_store_b128 v[34:35], v[12:15], off
	v_mov_b32_e32 v3, v252
	v_lshlrev_b64 v[0:1], 4, v[38:39]
	v_add_co_u32 v4, vcc_lo, v41, v36
	v_dual_mov_b32 v9, v252 :: v_dual_add_nc_u32 v2, 0x4b0, v251
	v_add_co_ci_u32_e32 v5, vcc_lo, v42, v37, vcc_lo
	s_delay_alu instid0(VALU_DEP_4)
	v_add_co_u32 v6, vcc_lo, v41, v0
	v_add_nc_u32_e32 v8, 0x514, v251
	v_add_co_ci_u32_e32 v7, vcc_lo, v42, v1, vcc_lo
	v_lshlrev_b64 v[10:11], 4, v[2:3]
	ds_load_b128 v[0:3], v40 offset:19200
	s_waitcnt lgkmcnt(2)
	global_store_b128 v[4:5], v[16:19], off
	s_waitcnt lgkmcnt(1)
	global_store_b128 v[6:7], v[20:23], off
	v_mov_b32_e32 v7, v252
	v_lshlrev_b64 v[4:5], 4, v[8:9]
	v_dual_mov_b32 v17, v252 :: v_dual_add_nc_u32 v6, 0x578, v251
	v_add_co_u32 v28, vcc_lo, v41, v10
	v_add_co_ci_u32_e32 v29, vcc_lo, v42, v11, vcc_lo
	s_delay_alu instid0(VALU_DEP_4)
	v_add_co_u32 v30, vcc_lo, v41, v4
	v_dual_mov_b32 v21, v252 :: v_dual_add_nc_u32 v16, 0x5dc, v251
	v_add_co_ci_u32_e32 v31, vcc_lo, v42, v5, vcc_lo
	v_lshlrev_b64 v[18:19], 4, v[6:7]
	ds_load_b128 v[4:7], v40 offset:20800
	ds_load_b128 v[8:11], v40 offset:22400
	ds_load_b128 v[12:15], v40 offset:24000
	v_lshlrev_b64 v[16:17], 4, v[16:17]
	v_add_nc_u32_e32 v20, 0x640, v251
	v_add_nc_u32_e32 v38, 0x6a4, v251
	v_add_co_u32 v32, vcc_lo, v41, v18
	v_add_co_ci_u32_e32 v33, vcc_lo, v42, v19, vcc_lo
	v_add_co_u32 v34, vcc_lo, v41, v16
	v_add_co_ci_u32_e32 v35, vcc_lo, v42, v17, vcc_lo
	ds_load_b128 v[16:19], v40 offset:25600
	v_lshlrev_b64 v[36:37], 4, v[20:21]
	ds_load_b128 v[20:23], v40 offset:27200
	s_waitcnt lgkmcnt(5)
	global_store_b128 v[28:29], v[0:3], off
	s_waitcnt lgkmcnt(4)
	global_store_b128 v[30:31], v[4:7], off
	s_waitcnt lgkmcnt(3)
	global_store_b128 v[32:33], v[8:11], off
	s_waitcnt lgkmcnt(2)
	global_store_b128 v[34:35], v[12:15], off
	v_mov_b32_e32 v9, v252
	v_lshlrev_b64 v[0:1], 4, v[38:39]
	v_add_co_u32 v4, vcc_lo, v41, v36
	v_dual_mov_b32 v3, v252 :: v_dual_add_nc_u32 v2, 0x708, v251
	v_add_co_ci_u32_e32 v5, vcc_lo, v42, v37, vcc_lo
	s_delay_alu instid0(VALU_DEP_4)
	v_add_co_u32 v6, vcc_lo, v41, v0
	v_add_nc_u32_e32 v8, 0x76c, v251
	v_add_co_ci_u32_e32 v7, vcc_lo, v42, v1, vcc_lo
	v_lshlrev_b64 v[10:11], 4, v[2:3]
	ds_load_b128 v[0:3], v40 offset:28800
	s_waitcnt lgkmcnt(2)
	global_store_b128 v[4:5], v[16:19], off
	s_waitcnt lgkmcnt(1)
	global_store_b128 v[6:7], v[20:23], off
	v_mov_b32_e32 v17, v252
	v_lshlrev_b64 v[4:5], 4, v[8:9]
	v_dual_mov_b32 v21, v252 :: v_dual_add_nc_u32 v6, 0x7d0, v251
	v_add_co_u32 v28, vcc_lo, v41, v10
	v_mov_b32_e32 v7, v252
	v_add_co_ci_u32_e32 v29, vcc_lo, v42, v11, vcc_lo
	v_add_co_u32 v30, vcc_lo, v41, v4
	v_add_nc_u32_e32 v16, 0x834, v251
	v_add_co_ci_u32_e32 v31, vcc_lo, v42, v5, vcc_lo
	v_lshlrev_b64 v[18:19], 4, v[6:7]
	ds_load_b128 v[4:7], v40 offset:30400
	ds_load_b128 v[8:11], v40 offset:32000
	;; [unrolled: 1-line block ×3, first 2 shown]
	v_lshlrev_b64 v[16:17], 4, v[16:17]
	v_add_nc_u32_e32 v20, 0x898, v251
	v_add_nc_u32_e32 v38, 0x8fc, v251
	v_add_co_u32 v32, vcc_lo, v41, v18
	v_add_co_ci_u32_e32 v33, vcc_lo, v42, v19, vcc_lo
	v_add_co_u32 v34, vcc_lo, v41, v16
	v_add_co_ci_u32_e32 v35, vcc_lo, v42, v17, vcc_lo
	ds_load_b128 v[16:19], v40 offset:35200
	v_lshlrev_b64 v[36:37], 4, v[20:21]
	ds_load_b128 v[20:23], v40 offset:36800
	s_waitcnt lgkmcnt(5)
	global_store_b128 v[28:29], v[0:3], off
	s_waitcnt lgkmcnt(4)
	global_store_b128 v[30:31], v[4:7], off
	s_waitcnt lgkmcnt(3)
	global_store_b128 v[32:33], v[8:11], off
	s_waitcnt lgkmcnt(2)
	global_store_b128 v[34:35], v[12:15], off
	v_add_nc_u32_e32 v2, 0x960, v251
	v_add_nc_u32_e32 v8, 0x9c4, v251
	;; [unrolled: 1-line block ×6, first 2 shown]
	v_mov_b32_e32 v29, v252
	v_mov_b32_e32 v13, v252
	v_lshlrev_b64 v[0:1], 4, v[38:39]
	v_add_co_u32 v4, vcc_lo, v41, v36
	v_mov_b32_e32 v3, v252
	v_add_co_ci_u32_e32 v5, vcc_lo, v42, v37, vcc_lo
	s_delay_alu instid0(VALU_DEP_4)
	v_add_co_u32 v6, vcc_lo, v41, v0
	v_mov_b32_e32 v9, v252
	v_add_co_ci_u32_e32 v7, vcc_lo, v42, v1, vcc_lo
	v_mov_b32_e32 v15, v252
	v_lshlrev_b64 v[10:11], 4, v[2:3]
	ds_load_b128 v[0:3], v40 offset:38400
	s_waitcnt lgkmcnt(2)
	global_store_b128 v[4:5], v[16:19], off
	s_waitcnt lgkmcnt(1)
	global_store_b128 v[6:7], v[20:23], off
	v_lshlrev_b64 v[4:5], 4, v[8:9]
	v_lshlrev_b64 v[12:13], 4, v[12:13]
	;; [unrolled: 1-line block ×3, first 2 shown]
	v_add_co_u32 v20, vcc_lo, v41, v10
	v_add_co_ci_u32_e32 v21, vcc_lo, v42, v11, vcc_lo
	v_add_co_u32 v22, vcc_lo, v41, v4
	v_add_co_ci_u32_e32 v23, vcc_lo, v42, v5, vcc_lo
	v_add_co_u32 v30, vcc_lo, v41, v12
	ds_load_b128 v[4:7], v40 offset:40000
	ds_load_b128 v[8:11], v40 offset:41600
	v_add_co_ci_u32_e32 v31, vcc_lo, v42, v13, vcc_lo
	ds_load_b128 v[12:15], v40 offset:43200
	ds_load_b128 v[16:19], v40 offset:44800
	v_lshlrev_b64 v[28:29], 4, v[28:29]
	v_add_co_u32 v32, vcc_lo, v41, v32
	v_lshlrev_b64 v[34:35], 4, v[251:252]
	v_add_co_ci_u32_e32 v33, vcc_lo, v42, v33, vcc_lo
	s_delay_alu instid0(VALU_DEP_4) | instskip(SKIP_1) | instid1(VALU_DEP_4)
	v_add_co_u32 v28, vcc_lo, v41, v28
	v_add_co_ci_u32_e32 v29, vcc_lo, v42, v29, vcc_lo
	v_add_co_u32 v34, vcc_lo, v41, v34
	v_add_co_ci_u32_e32 v35, vcc_lo, v42, v35, vcc_lo
	s_waitcnt lgkmcnt(4)
	global_store_b128 v[20:21], v[0:3], off
	s_waitcnt lgkmcnt(3)
	global_store_b128 v[22:23], v[4:7], off
	;; [unrolled: 2-line block ×4, first 2 shown]
	s_waitcnt lgkmcnt(0)
	s_clause 0x1
	global_store_b128 v[28:29], v[16:19], off
	global_store_b128 v[34:35], v[24:27], off
.LBB0_21:
	s_nop 0
	s_sendmsg sendmsg(MSG_DEALLOC_VGPRS)
	s_endpgm
	.section	.rodata,"a",@progbits
	.p2align	6, 0x0
	.amdhsa_kernel fft_rtc_fwd_len3000_factors_10_3_10_10_wgs_100_tpt_100_halfLds_dp_op_CI_CI_unitstride_sbrr_C2R_dirReg
		.amdhsa_group_segment_fixed_size 0
		.amdhsa_private_segment_fixed_size 132
		.amdhsa_kernarg_size 104
		.amdhsa_user_sgpr_count 15
		.amdhsa_user_sgpr_dispatch_ptr 0
		.amdhsa_user_sgpr_queue_ptr 0
		.amdhsa_user_sgpr_kernarg_segment_ptr 1
		.amdhsa_user_sgpr_dispatch_id 0
		.amdhsa_user_sgpr_private_segment_size 0
		.amdhsa_wavefront_size32 1
		.amdhsa_uses_dynamic_stack 0
		.amdhsa_enable_private_segment 1
		.amdhsa_system_sgpr_workgroup_id_x 1
		.amdhsa_system_sgpr_workgroup_id_y 0
		.amdhsa_system_sgpr_workgroup_id_z 0
		.amdhsa_system_sgpr_workgroup_info 0
		.amdhsa_system_vgpr_workitem_id 0
		.amdhsa_next_free_vgpr 256
		.amdhsa_next_free_sgpr 27
		.amdhsa_reserve_vcc 1
		.amdhsa_float_round_mode_32 0
		.amdhsa_float_round_mode_16_64 0
		.amdhsa_float_denorm_mode_32 3
		.amdhsa_float_denorm_mode_16_64 3
		.amdhsa_dx10_clamp 1
		.amdhsa_ieee_mode 1
		.amdhsa_fp16_overflow 0
		.amdhsa_workgroup_processor_mode 1
		.amdhsa_memory_ordered 1
		.amdhsa_forward_progress 0
		.amdhsa_shared_vgpr_count 0
		.amdhsa_exception_fp_ieee_invalid_op 0
		.amdhsa_exception_fp_denorm_src 0
		.amdhsa_exception_fp_ieee_div_zero 0
		.amdhsa_exception_fp_ieee_overflow 0
		.amdhsa_exception_fp_ieee_underflow 0
		.amdhsa_exception_fp_ieee_inexact 0
		.amdhsa_exception_int_div_zero 0
	.end_amdhsa_kernel
	.text
.Lfunc_end0:
	.size	fft_rtc_fwd_len3000_factors_10_3_10_10_wgs_100_tpt_100_halfLds_dp_op_CI_CI_unitstride_sbrr_C2R_dirReg, .Lfunc_end0-fft_rtc_fwd_len3000_factors_10_3_10_10_wgs_100_tpt_100_halfLds_dp_op_CI_CI_unitstride_sbrr_C2R_dirReg
                                        ; -- End function
	.section	.AMDGPU.csdata,"",@progbits
; Kernel info:
; codeLenInByte = 25792
; NumSgprs: 29
; NumVgprs: 256
; ScratchSize: 132
; MemoryBound: 0
; FloatMode: 240
; IeeeMode: 1
; LDSByteSize: 0 bytes/workgroup (compile time only)
; SGPRBlocks: 3
; VGPRBlocks: 31
; NumSGPRsForWavesPerEU: 29
; NumVGPRsForWavesPerEU: 256
; Occupancy: 5
; WaveLimiterHint : 1
; COMPUTE_PGM_RSRC2:SCRATCH_EN: 1
; COMPUTE_PGM_RSRC2:USER_SGPR: 15
; COMPUTE_PGM_RSRC2:TRAP_HANDLER: 0
; COMPUTE_PGM_RSRC2:TGID_X_EN: 1
; COMPUTE_PGM_RSRC2:TGID_Y_EN: 0
; COMPUTE_PGM_RSRC2:TGID_Z_EN: 0
; COMPUTE_PGM_RSRC2:TIDIG_COMP_CNT: 0
	.text
	.p2alignl 7, 3214868480
	.fill 96, 4, 3214868480
	.type	__hip_cuid_732942e57f9f4651,@object ; @__hip_cuid_732942e57f9f4651
	.section	.bss,"aw",@nobits
	.globl	__hip_cuid_732942e57f9f4651
__hip_cuid_732942e57f9f4651:
	.byte	0                               ; 0x0
	.size	__hip_cuid_732942e57f9f4651, 1

	.ident	"AMD clang version 19.0.0git (https://github.com/RadeonOpenCompute/llvm-project roc-6.4.0 25133 c7fe45cf4b819c5991fe208aaa96edf142730f1d)"
	.section	".note.GNU-stack","",@progbits
	.addrsig
	.addrsig_sym __hip_cuid_732942e57f9f4651
	.amdgpu_metadata
---
amdhsa.kernels:
  - .args:
      - .actual_access:  read_only
        .address_space:  global
        .offset:         0
        .size:           8
        .value_kind:     global_buffer
      - .offset:         8
        .size:           8
        .value_kind:     by_value
      - .actual_access:  read_only
        .address_space:  global
        .offset:         16
        .size:           8
        .value_kind:     global_buffer
      - .actual_access:  read_only
        .address_space:  global
        .offset:         24
        .size:           8
        .value_kind:     global_buffer
      - .actual_access:  read_only
        .address_space:  global
        .offset:         32
        .size:           8
        .value_kind:     global_buffer
      - .offset:         40
        .size:           8
        .value_kind:     by_value
      - .actual_access:  read_only
        .address_space:  global
        .offset:         48
        .size:           8
        .value_kind:     global_buffer
      - .actual_access:  read_only
        .address_space:  global
        .offset:         56
        .size:           8
        .value_kind:     global_buffer
      - .offset:         64
        .size:           4
        .value_kind:     by_value
      - .actual_access:  read_only
        .address_space:  global
        .offset:         72
        .size:           8
        .value_kind:     global_buffer
      - .actual_access:  read_only
        .address_space:  global
        .offset:         80
        .size:           8
        .value_kind:     global_buffer
      - .actual_access:  read_only
        .address_space:  global
        .offset:         88
        .size:           8
        .value_kind:     global_buffer
      - .actual_access:  write_only
        .address_space:  global
        .offset:         96
        .size:           8
        .value_kind:     global_buffer
    .group_segment_fixed_size: 0
    .kernarg_segment_align: 8
    .kernarg_segment_size: 104
    .language:       OpenCL C
    .language_version:
      - 2
      - 0
    .max_flat_workgroup_size: 100
    .name:           fft_rtc_fwd_len3000_factors_10_3_10_10_wgs_100_tpt_100_halfLds_dp_op_CI_CI_unitstride_sbrr_C2R_dirReg
    .private_segment_fixed_size: 132
    .sgpr_count:     29
    .sgpr_spill_count: 0
    .symbol:         fft_rtc_fwd_len3000_factors_10_3_10_10_wgs_100_tpt_100_halfLds_dp_op_CI_CI_unitstride_sbrr_C2R_dirReg.kd
    .uniform_work_group_size: 1
    .uses_dynamic_stack: false
    .vgpr_count:     256
    .vgpr_spill_count: 37
    .wavefront_size: 32
    .workgroup_processor_mode: 1
amdhsa.target:   amdgcn-amd-amdhsa--gfx1100
amdhsa.version:
  - 1
  - 2
...

	.end_amdgpu_metadata
